;; amdgpu-corpus repo=ggml-org/llama.cpp kind=compiled arch=gfx1030 opt=O3
	.amdgcn_target "amdgcn-amd-amdhsa--gfx1030"
	.amdhsa_code_object_version 6
	.section	.text._ZL12rwkv_wkv_f32ILi64EEviiiiPKfS1_S1_S1_S1_S1_Pf,"axG",@progbits,_ZL12rwkv_wkv_f32ILi64EEviiiiPKfS1_S1_S1_S1_S1_Pf,comdat
	.globl	_ZL12rwkv_wkv_f32ILi64EEviiiiPKfS1_S1_S1_S1_S1_Pf ; -- Begin function _ZL12rwkv_wkv_f32ILi64EEviiiiPKfS1_S1_S1_S1_S1_Pf
	.p2align	8
	.type	_ZL12rwkv_wkv_f32ILi64EEviiiiPKfS1_S1_S1_S1_S1_Pf,@function
_ZL12rwkv_wkv_f32ILi64EEviiiiPKfS1_S1_S1_S1_S1_Pf: ; @_ZL12rwkv_wkv_f32ILi64EEviiiiPKfS1_S1_S1_S1_S1_Pf
; %bb.0:
	s_load_dwordx4 s[16:19], s[4:5], 0x0
	s_mov_b64 s[26:27], s[2:3]
	s_mov_b64 s[24:25], s[0:1]
	v_mov_b32_e32 v55, v0
	s_add_u32 s24, s24, s7
	s_addc_u32 s25, s25, 0
	s_abs_i32 s3, s6
	s_waitcnt lgkmcnt(0)
	s_abs_i32 s0, s19
	v_cvt_f32_u32_e32 v1, s0
	s_sub_i32 s2, 0, s0
	v_rcp_iflag_f32_e32 v1, v1
	v_mul_f32_e32 v1, 0x4f7ffffe, v1
	v_cvt_u32_f32_e32 v1, v1
	v_readfirstlane_b32 s1, v1
	s_mul_i32 s2, s2, s1
	s_mul_hi_u32 s2, s1, s2
	s_add_i32 s1, s1, s2
	s_xor_b32 s2, s6, s19
	s_mul_hi_u32 s1, s3, s1
	s_ashr_i32 s2, s2, 31
	s_mul_i32 s7, s1, s0
	s_sub_i32 s3, s3, s7
	s_add_i32 s7, s1, 1
	s_sub_i32 s8, s3, s0
	s_cmp_ge_u32 s3, s0
	s_cselect_b32 s1, s7, s1
	s_cselect_b32 s3, s8, s3
	s_add_i32 s7, s1, 1
	s_cmp_ge_u32 s3, s0
	s_load_dwordx8 s[8:15], s[4:5], 0x30
	s_cselect_b32 s0, s7, s1
	s_xor_b32 s0, s0, s2
	s_sub_i32 s20, s0, s2
	s_mul_i32 s0, s20, s19
	s_mul_i32 s1, s18, s20
	s_sub_i32 s19, s6, s0
	s_lshl_b32 s0, s1, 6
	s_lshl_b32 s1, s19, 12
	v_lshl_add_u32 v124, s19, 6, v55
	v_add3_u32 v48, s1, s0, v55
	s_load_dwordx8 s[0:7], s[4:5], 0x10
	v_ashrrev_i32_e32 v125, 31, v124
	v_add_nc_u32_e32 v1, 0x200, v48
	v_ashrrev_i32_e32 v49, 31, v48
	v_add_nc_u32_e32 v7, 0x2c0, v48
	v_add_nc_u32_e32 v3, 0x240, v48
	;; [unrolled: 1-line block ×3, first 2 shown]
	v_ashrrev_i32_e32 v2, 31, v1
	v_lshlrev_b64 v[25:26], 2, v[48:49]
	v_ashrrev_i32_e32 v8, 31, v7
	v_ashrrev_i32_e32 v4, 31, v3
	;; [unrolled: 1-line block ×3, first 2 shown]
	v_lshlrev_b64 v[27:28], 2, v[1:2]
	v_add_nc_u32_e32 v9, 0x300, v48
	v_lshlrev_b64 v[31:32], 2, v[7:8]
	s_waitcnt lgkmcnt(0)
	v_add_co_u32 v7, vcc_lo, s10, v25
	v_add_co_ci_u32_e64 v8, null, s11, v26, vcc_lo
	v_add_co_u32 v0, vcc_lo, s10, v27
	v_lshlrev_b64 v[29:30], 2, v[3:4]
	v_add_co_ci_u32_e64 v1, null, s11, v28, vcc_lo
	v_add_nc_u32_e32 v11, 0x340, v48
	buffer_store_dword v0, off, s[24:27], 0 ; 4-byte Folded Spill
	buffer_store_dword v1, off, s[24:27], 0 offset:4 ; 4-byte Folded Spill
	v_lshlrev_b64 v[4:5], 2, v[5:6]
	v_add_co_u32 v0, vcc_lo, s10, v29
	v_add_co_ci_u32_e64 v1, null, s11, v30, vcc_lo
	v_ashrrev_i32_e32 v10, 31, v9
	v_ashrrev_i32_e32 v12, 31, v11
	v_add_nc_u32_e32 v13, 0x380, v48
	v_add_co_u32 v94, vcc_lo, s10, v4
	buffer_store_dword v0, off, s[24:27], 0 offset:8 ; 4-byte Folded Spill
	buffer_store_dword v1, off, s[24:27], 0 offset:12 ; 4-byte Folded Spill
	v_add_nc_u32_e32 v15, 0x3c0, v48
	v_lshlrev_b64 v[33:34], 2, v[9:10]
	v_add_co_ci_u32_e64 v95, null, s11, v5, vcc_lo
	v_add_co_u32 v0, vcc_lo, s10, v31
	v_lshlrev_b64 v[10:11], 2, v[11:12]
	v_add_co_ci_u32_e64 v1, null, s11, v32, vcc_lo
	v_ashrrev_i32_e32 v14, 31, v13
	v_ashrrev_i32_e32 v16, 31, v15
	v_add_co_u32 v96, vcc_lo, s10, v33
	buffer_store_dword v0, off, s[24:27], 0 offset:16 ; 4-byte Folded Spill
	buffer_store_dword v1, off, s[24:27], 0 offset:20 ; 4-byte Folded Spill
	v_add_nc_u32_e32 v17, 0x400, v48
	v_lshlrev_b64 v[35:36], 2, v[13:14]
	v_add_co_ci_u32_e64 v97, null, s11, v34, vcc_lo
	v_add_co_u32 v0, vcc_lo, s10, v10
	v_lshlrev_b64 v[37:38], 2, v[15:16]
	v_add_co_ci_u32_e64 v1, null, s11, v11, vcc_lo
	v_ashrrev_i32_e32 v18, 31, v17
	v_add_co_u32 v13, vcc_lo, s10, v35
	buffer_store_dword v0, off, s[24:27], 0 offset:24 ; 4-byte Folded Spill
	buffer_store_dword v1, off, s[24:27], 0 offset:28 ; 4-byte Folded Spill
	v_add_co_ci_u32_e64 v14, null, s11, v36, vcc_lo
	v_add_co_u32 v0, vcc_lo, s10, v37
	v_lshlrev_b64 v[39:40], 2, v[17:18]
	v_add_co_ci_u32_e64 v1, null, s11, v38, vcc_lo
	buffer_store_dword v0, off, s[24:27], 0 offset:32 ; 4-byte Folded Spill
	buffer_store_dword v1, off, s[24:27], 0 offset:36 ; 4-byte Folded Spill
	v_add_co_u32 v0, vcc_lo, s10, v39
	v_add_co_ci_u32_e64 v1, null, s11, v40, vcc_lo
	buffer_store_dword v0, off, s[24:27], 0 offset:40 ; 4-byte Folded Spill
	buffer_store_dword v1, off, s[24:27], 0 offset:44 ; 4-byte Folded Spill
	v_add_nc_u32_e32 v19, 0x440, v48
	v_add_nc_u32_e32 v22, 0x480, v48
	;; [unrolled: 1-line block ×5, first 2 shown]
	v_ashrrev_i32_e32 v20, 31, v19
	v_ashrrev_i32_e32 v23, 31, v22
	;; [unrolled: 1-line block ×5, first 2 shown]
	v_lshlrev_b64 v[41:42], 2, v[19:20]
	v_lshlrev_b64 v[4:5], 2, v[22:23]
	;; [unrolled: 1-line block ×3, first 2 shown]
	v_add_nc_u32_e32 v32, 0x5c0, v48
	v_lshlrev_b64 v[30:31], 2, v[28:29]
	v_add_nc_u32_e32 v36, 0x640, v48
	v_add_co_u32 v22, vcc_lo, s10, v41
	v_add_co_ci_u32_e64 v23, null, s11, v42, vcc_lo
	v_add_co_u32 v24, vcc_lo, s10, v4
	v_add_co_ci_u32_e64 v25, null, s11, v5, vcc_lo
	v_lshlrev_b64 v[4:5], 2, v[10:11]
	v_add_nc_u32_e32 v10, 0x580, v48
	v_add_co_u32 v26, vcc_lo, s10, v26
	v_add_co_ci_u32_e64 v27, null, s11, v27, vcc_lo
	v_ashrrev_i32_e32 v11, 31, v10
	v_add_co_u32 v16, vcc_lo, s10, v4
	v_add_co_ci_u32_e64 v17, null, s11, v5, vcc_lo
	v_lshlrev_b64 v[4:5], 2, v[10:11]
	v_add_nc_u32_e32 v10, 0x600, v48
	v_ashrrev_i32_e32 v33, 31, v32
	v_add_co_u32 v19, vcc_lo, s10, v30
	v_add_co_ci_u32_e64 v20, null, s11, v31, vcc_lo
	v_ashrrev_i32_e32 v11, 31, v10
	v_lshlrev_b64 v[34:35], 2, v[32:33]
	v_add_co_u32 v32, vcc_lo, s10, v4
	v_add_co_ci_u32_e64 v33, null, s11, v5, vcc_lo
	v_lshlrev_b64 v[4:5], 2, v[10:11]
	v_add_nc_u32_e32 v10, 0x680, v48
	v_ashrrev_i32_e32 v37, 31, v36
	v_add_co_u32 v34, vcc_lo, s10, v34
	v_add_co_ci_u32_e64 v35, null, s11, v35, vcc_lo
	v_ashrrev_i32_e32 v11, 31, v10
	v_lshlrev_b64 v[38:39], 2, v[36:37]
	v_add_nc_u32_e32 v40, 0x6c0, v48
	v_add_co_u32 v36, vcc_lo, s10, v4
	v_add_co_ci_u32_e64 v37, null, s11, v5, vcc_lo
	v_lshlrev_b64 v[4:5], 2, v[10:11]
	v_add_nc_u32_e32 v10, 0x700, v48
	v_ashrrev_i32_e32 v41, 31, v40
	v_add_co_u32 v38, vcc_lo, s10, v38
	v_add_co_ci_u32_e64 v39, null, s11, v39, vcc_lo
	v_ashrrev_i32_e32 v11, 31, v10
	v_lshlrev_b64 v[42:43], 2, v[40:41]
	v_add_co_u32 v40, vcc_lo, s10, v4
	v_add_nc_u32_e32 v44, 0x740, v48
	v_add_co_ci_u32_e64 v41, null, s11, v5, vcc_lo
	v_lshlrev_b64 v[4:5], 2, v[10:11]
	v_add_nc_u32_e32 v10, 0x780, v48
	v_ashrrev_i32_e32 v45, 31, v44
	v_add_co_u32 v42, vcc_lo, s10, v42
	v_add_co_ci_u32_e64 v43, null, s11, v43, vcc_lo
	v_ashrrev_i32_e32 v11, 31, v10
	v_add_co_u32 v90, vcc_lo, s10, v4
	v_lshlrev_b64 v[44:45], 2, v[44:45]
	v_add_nc_u32_e32 v46, 0x7c0, v48
	v_add_co_ci_u32_e64 v91, null, s11, v5, vcc_lo
	v_lshlrev_b64 v[4:5], 2, v[10:11]
	v_add_nc_u32_e32 v10, 0x800, v48
	v_ashrrev_i32_e32 v47, 31, v46
	v_add_co_u32 v98, vcc_lo, s10, v44
	v_add_co_ci_u32_e64 v99, null, s11, v45, vcc_lo
	v_ashrrev_i32_e32 v11, 31, v10
	v_add_co_u32 v92, vcc_lo, s10, v4
	v_lshlrev_b64 v[44:45], 2, v[46:47]
	;; [unrolled: 10-line block ×16, first 2 shown]
	v_add_co_ci_u32_e64 v119, null, s11, v5, vcc_lo
	v_lshlrev_b64 v[4:5], 2, v[10:11]
	v_add_nc_u32_e32 v10, 0xf40, v48
	v_add_nc_u32_e32 v46, 0xf80, v48
	v_add_co_u32 v120, vcc_lo, s10, v44
	v_add_co_ci_u32_e64 v121, null, s11, v45, vcc_lo
	v_ashrrev_i32_e32 v11, 31, v10
	v_add_nc_u32_e32 v44, 0xfc0, v48
	v_add_co_u32 v122, vcc_lo, s10, v4
	v_add_co_ci_u32_e64 v123, null, s11, v5, vcc_lo
	v_lshlrev_b64 v[4:5], 2, v[10:11]
	v_ashrrev_i32_e32 v47, 31, v46
	v_ashrrev_i32_e32 v45, 31, v44
	v_mov_b32_e32 v0, v48
	buffer_store_dword v0, off, s[24:27], 0 offset:64 ; 4-byte Folded Spill
	buffer_store_dword v1, off, s[24:27], 0 offset:68 ; 4-byte Folded Spill
	v_lshlrev_b64 v[10:11], 2, v[46:47]
	v_add_co_u32 v126, vcc_lo, s10, v4
	v_add_co_ci_u32_e64 v127, null, s11, v5, vcc_lo
	v_lshlrev_b64 v[4:5], 2, v[44:45]
	v_add_co_u32 v2, vcc_lo, s10, v10
	v_add_co_ci_u32_e64 v3, null, s11, v11, vcc_lo
	v_lshlrev_b64 v[10:11], 2, v[124:125]
	v_add_co_u32 v0, vcc_lo, s10, v4
	s_clause 0x7
	global_load_dword v63, v[7:8], off
	global_load_dword v62, v[7:8], off offset:256
	global_load_dword v61, v[7:8], off offset:512
	;; [unrolled: 1-line block ×7, first 2 shown]
	s_clause 0x1
	buffer_load_dword v7, off, s[24:27], 0
	buffer_load_dword v8, off, s[24:27], 0 offset:4
	v_add_co_ci_u32_e64 v1, null, s11, v5, vcc_lo
	v_add_co_u32 v5, vcc_lo, s6, v10
	v_add_co_ci_u32_e64 v6, null, s7, v11, vcc_lo
	s_abs_i32 s6, s16
	s_abs_i32 s11, s17
	s_sub_i32 s10, 0, s6
	s_waitcnt vmcnt(0)
	global_load_dword v10, v[7:8], off
	s_clause 0x1
	buffer_load_dword v7, off, s[24:27], 0 offset:8
	buffer_load_dword v8, off, s[24:27], 0 offset:12
	s_waitcnt vmcnt(0)
	s_clause 0x1
	global_load_dword v9, v[7:8], off
	global_load_dword v95, v[94:95], off
	s_clause 0x1
	buffer_load_dword v7, off, s[24:27], 0 offset:16
	buffer_load_dword v8, off, s[24:27], 0 offset:20
	s_waitcnt vmcnt(0)
	s_clause 0x1
	global_load_dword v94, v[7:8], off
	;; [unrolled: 7-line block ×3, first 2 shown]
	global_load_dword v8, v[13:14], off
	s_clause 0x1
	buffer_load_dword v13, off, s[24:27], 0 offset:32
	buffer_load_dword v14, off, s[24:27], 0 offset:36
	s_waitcnt vmcnt(0)
	global_load_dword v7, v[13:14], off
	s_clause 0x1
	buffer_load_dword v13, off, s[24:27], 0 offset:40
	buffer_load_dword v14, off, s[24:27], 0 offset:44
	s_waitcnt vmcnt(0)
	s_clause 0x2f
	global_load_dword v18, v[13:14], off
	global_load_dword v15, v[22:23], off
	;; [unrolled: 1-line block ×48, first 2 shown]
	s_waitcnt vmcnt(0)
	s_waitcnt_vscnt null, 0x0
	s_barrier
	buffer_gl0_inv
	global_load_dword v0, v[5:6], off
	v_cvt_f32_u32_e32 v1, s6
	v_rcp_iflag_f32_e32 v1, v1
	v_mul_f32_e32 v1, 0x4f7ffffe, v1
	v_cvt_u32_f32_e32 v1, v1
	v_readfirstlane_b32 s7, v1
	v_lshlrev_b32_e32 v1, 2, v55
	s_mul_i32 s10, s10, s7
	buffer_store_dword v1, off, s[24:27], 0 offset:40 ; 4-byte Folded Spill
	s_mul_hi_u32 s10, s7, s10
	s_add_i32 s7, s7, s10
	s_xor_b32 s10, s17, s16
	s_mul_hi_u32 s7, s11, s7
	s_ashr_i32 s10, s10, 31
	s_mul_i32 s14, s7, s6
	s_sub_i32 s11, s11, s14
	s_add_i32 s14, s7, 1
	s_sub_i32 s15, s11, s6
	s_cmp_ge_u32 s11, s6
	s_cselect_b32 s7, s14, s7
	s_cselect_b32 s11, s15, s11
	s_add_i32 s14, s7, 1
	s_cmp_ge_u32 s11, s6
	s_mov_b32 s11, exec_lo
	s_cselect_b32 s6, s14, s7
	s_add_i32 s7, s20, 1
	s_xor_b32 s6, s6, s10
	s_sub_i32 s6, s6, s10
	s_mov_b32 s10, 0
	s_mul_i32 s6, s6, s18
	v_mad_u64_u32 v[2:3], null, s6, s20, v[124:125]
	v_mad_u64_u32 v[70:71], null, s6, s7, v[124:125]
	s_waitcnt vmcnt(0)
	ds_write_b32 v1, v0 offset:768
	s_waitcnt lgkmcnt(0)
	s_waitcnt_vscnt null, 0x0
	s_barrier
	buffer_gl0_inv
	v_cmpx_lt_i32_e64 v2, v70
	s_cbranch_execz .LBB0_4
; %bb.1:
	buffer_load_dword v0, off, s[24:27], 0 offset:40 ; 4-byte Folded Reload
	v_ashrrev_i32_e32 v3, 31, v2
	s_ashr_i32 s19, s18, 31
	s_lshl_b64 s[6:7], s[18:19], 2
	v_lshlrev_b64 v[5:6], 2, v[2:3]
	v_mov_b32_e32 v3, 0
	s_waitcnt vmcnt(0)
	v_add_nc_u32_e32 v1, 0x100, v0
	v_add_nc_u32_e32 v0, 0x200, v0
	buffer_store_dword v1, off, s[24:27], 0 offset:56 ; 4-byte Folded Spill
	buffer_store_dword v0, off, s[24:27], 0 offset:60 ; 4-byte Folded Spill
	;; [unrolled: 1-line block ×4, first 2 shown]
.LBB0_2:                                ; =>This Inner Loop Header: Depth=1
	v_mov_b32_e32 v122, v7
	v_add_co_u32 v7, vcc_lo, s0, v5
	v_mov_b32_e32 v123, v8
	v_add_co_ci_u32_e64 v8, null, s1, v6, vcc_lo
	v_mov_b32_e32 v90, v4
	buffer_store_dword v60, off, s[24:27], 0 offset:32 ; 4-byte Folded Spill
	buffer_store_dword v69, off, s[24:27], 0 offset:24 ; 4-byte Folded Spill
	;; [unrolled: 1-line block ×4, first 2 shown]
	buffer_store_dword v66, off, s[24:27], 0 ; 4-byte Folded Spill
	s_waitcnt_vscnt null, 0x0
	s_barrier
	s_waitcnt vmcnt(0)
	buffer_gl0_inv
	global_load_dword v4, v[7:8], off
	buffer_load_dword v7, off, s[24:27], 0 offset:40 ; 4-byte Folded Reload
	v_mov_b32_e32 v97, v10
	v_mov_b32_e32 v96, v9
	;; [unrolled: 1-line block ×56, first 2 shown]
	v_add_nc_u32_e32 v2, s18, v2
	s_waitcnt vmcnt(0)
	ds_write_b32 v7, v4
	v_add_co_u32 v7, vcc_lo, s4, v5
	v_add_co_ci_u32_e64 v8, null, s5, v6, vcc_lo
	global_load_dword v4, v[7:8], off
	buffer_load_dword v7, off, s[24:27], 0 offset:56 ; 4-byte Folded Reload
	s_waitcnt vmcnt(0)
	ds_write_b32 v7, v4
	v_add_co_u32 v7, vcc_lo, s8, v5
	v_add_co_ci_u32_e64 v8, null, s9, v6, vcc_lo
	global_load_dword v4, v[7:8], off
	buffer_load_dword v7, off, s[24:27], 0 offset:60 ; 4-byte Folded Reload
	s_waitcnt vmcnt(0)
	ds_write_b32 v7, v4
	v_add_co_u32 v7, vcc_lo, s2, v5
	v_add_co_ci_u32_e64 v8, null, s3, v6, vcc_lo
	s_waitcnt lgkmcnt(0)
	s_barrier
	buffer_gl0_inv
	global_load_dword v66, v[7:8], off
	ds_read_b128 v[7:10], v3
	ds_read_b128 v[11:14], v3 offset:16
	ds_read_b128 v[15:18], v3 offset:32
	;; [unrolled: 1-line block ×3, first 2 shown]
	s_waitcnt vmcnt(0) lgkmcnt(3)
	v_mul_f32_e32 v63, v66, v7
	v_mul_f32_e32 v62, v66, v8
	;; [unrolled: 1-line block ×4, first 2 shown]
	ds_read_b128 v[7:10], v3 offset:256
	ds_read_b128 v[23:26], v3 offset:768
	s_waitcnt lgkmcnt(4)
	v_mul_f32_e32 v47, v66, v11
	v_mul_f32_e32 v46, v66, v12
	;; [unrolled: 1-line block ×3, first 2 shown]
	s_waitcnt lgkmcnt(3)
	v_mul_f32_e32 v95, v66, v17
	v_mul_f32_e32 v94, v66, v18
	s_waitcnt lgkmcnt(0)
	v_fma_f32 v4, v63, v23, v89
	v_fma_f32 v55, v7, v4, 0
	;; [unrolled: 1-line block ×3, first 2 shown]
	v_fmac_f32_e32 v55, v8, v4
	v_fma_f32 v4, v61, v25, v87
	v_fmac_f32_e32 v55, v9, v4
	v_fma_f32 v4, v48, v26, v86
	v_fmac_f32_e32 v55, v10, v4
	ds_read_b128 v[7:10], v3 offset:512
	v_mul_f32_e32 v4, v66, v14
	s_waitcnt lgkmcnt(0)
	v_fmac_f32_e32 v63, v89, v7
	v_fmac_f32_e32 v62, v88, v8
	v_fmac_f32_e32 v61, v87, v9
	v_fmac_f32_e32 v48, v86, v10
	ds_read_b128 v[7:10], v3 offset:272
	ds_read_b128 v[11:14], v3 offset:784
	s_waitcnt lgkmcnt(0)
	v_fma_f32 v11, v47, v11, v93
	v_fmac_f32_e32 v55, v7, v11
	v_fma_f32 v7, v46, v12, v92
	v_fmac_f32_e32 v55, v8, v7
	;; [unrolled: 2-line block ×4, first 2 shown]
	ds_read_b128 v[7:10], v3 offset:528
	s_waitcnt lgkmcnt(0)
	v_fmac_f32_e32 v45, v91, v9
	v_fmac_f32_e32 v4, v90, v10
	v_mul_f32_e32 v10, v66, v15
	v_mul_f32_e32 v9, v66, v16
	ds_read_b128 v[11:14], v3 offset:288
	ds_read_b128 v[15:18], v3 offset:800
	v_fmac_f32_e32 v47, v93, v7
	v_fmac_f32_e32 v46, v92, v8
	v_mul_f32_e32 v8, v66, v21
	s_waitcnt lgkmcnt(0)
	v_fma_f32 v7, v10, v15, v97
	v_fmac_f32_e32 v55, v11, v7
	v_fma_f32 v7, v9, v16, v96
	v_fmac_f32_e32 v55, v12, v7
	;; [unrolled: 2-line block ×4, first 2 shown]
	ds_read_b128 v[11:14], v3 offset:544
	v_mul_f32_e32 v7, v66, v22
	s_waitcnt lgkmcnt(0)
	v_fmac_f32_e32 v10, v97, v11
	v_fmac_f32_e32 v9, v96, v12
	;; [unrolled: 1-line block ×4, first 2 shown]
	v_mul_f32_e32 v12, v66, v19
	v_mul_f32_e32 v11, v66, v20
	ds_read_b128 v[13:16], v3 offset:304
	ds_read_b128 v[17:20], v3 offset:816
	s_waitcnt lgkmcnt(0)
	v_fma_f32 v17, v12, v17, v125
	v_fmac_f32_e32 v55, v13, v17
	v_fma_f32 v13, v11, v18, v124
	v_fmac_f32_e32 v55, v14, v13
	;; [unrolled: 2-line block ×4, first 2 shown]
	ds_read_b128 v[13:16], v3 offset:560
	s_waitcnt lgkmcnt(0)
	v_fmac_f32_e32 v11, v124, v14
	v_fmac_f32_e32 v8, v123, v15
	;; [unrolled: 1-line block ×3, first 2 shown]
	ds_read_b128 v[14:17], v3 offset:64
	ds_read_b128 v[19:22], v3 offset:320
	;; [unrolled: 1-line block ×3, first 2 shown]
	v_fmac_f32_e32 v12, v125, v13
	s_waitcnt lgkmcnt(2)
	v_mul_f32_e32 v18, v66, v14
	v_mul_f32_e32 v15, v66, v15
	;; [unrolled: 1-line block ×4, first 2 shown]
	s_waitcnt lgkmcnt(0)
	v_fma_f32 v16, v18, v23, v121
	v_fmac_f32_e32 v55, v19, v16
	v_fma_f32 v16, v15, v24, v120
	v_fmac_f32_e32 v55, v20, v16
	;; [unrolled: 2-line block ×4, first 2 shown]
	ds_read_b128 v[19:22], v3 offset:576
	s_waitcnt lgkmcnt(0)
	v_fmac_f32_e32 v14, v119, v21
	v_fmac_f32_e32 v13, v118, v22
	ds_read_b128 v[21:24], v3 offset:80
	v_fmac_f32_e32 v15, v120, v20
	v_fmac_f32_e32 v18, v121, v19
	s_waitcnt lgkmcnt(0)
	v_mul_f32_e32 v20, v66, v22
	v_mul_f32_e32 v17, v66, v23
	;; [unrolled: 1-line block ×3, first 2 shown]
	ds_read_b128 v[22:25], v3 offset:336
	ds_read_b128 v[26:29], v3 offset:848
	v_mul_f32_e32 v21, v66, v21
	s_waitcnt lgkmcnt(0)
	v_fma_f32 v19, v21, v26, v117
	v_fmac_f32_e32 v55, v22, v19
	v_fma_f32 v19, v20, v27, v116
	v_fmac_f32_e32 v55, v23, v19
	;; [unrolled: 2-line block ×4, first 2 shown]
	ds_read_b128 v[22:25], v3 offset:592
	s_waitcnt lgkmcnt(0)
	v_fmac_f32_e32 v17, v115, v24
	v_fmac_f32_e32 v16, v114, v25
	ds_read_b128 v[24:27], v3 offset:96
	v_fmac_f32_e32 v21, v117, v22
	v_fmac_f32_e32 v20, v116, v23
	s_waitcnt lgkmcnt(0)
	v_mul_f32_e32 v23, v66, v25
	v_mul_f32_e32 v22, v66, v26
	;; [unrolled: 1-line block ×3, first 2 shown]
	ds_read_b128 v[25:28], v3 offset:352
	ds_read_b128 v[29:32], v3 offset:864
	v_mul_f32_e32 v24, v66, v24
	s_waitcnt lgkmcnt(0)
	v_fma_f32 v29, v24, v29, v113
	v_fmac_f32_e32 v55, v25, v29
	v_fma_f32 v25, v23, v30, v112
	v_fmac_f32_e32 v55, v26, v25
	;; [unrolled: 2-line block ×4, first 2 shown]
	ds_read_b128 v[25:28], v3 offset:608
	s_waitcnt lgkmcnt(0)
	v_fmac_f32_e32 v19, v110, v28
	ds_read_b128 v[28:31], v3 offset:112
	v_fmac_f32_e32 v24, v113, v25
	v_fmac_f32_e32 v23, v112, v26
	;; [unrolled: 1-line block ×3, first 2 shown]
	s_waitcnt lgkmcnt(0)
	v_mul_f32_e32 v27, v66, v29
	v_mul_f32_e32 v26, v66, v30
	;; [unrolled: 1-line block ×3, first 2 shown]
	ds_read_b128 v[29:32], v3 offset:368
	ds_read_b128 v[33:36], v3 offset:880
	v_mul_f32_e32 v28, v66, v28
	s_waitcnt lgkmcnt(0)
	v_fma_f32 v33, v28, v33, v109
	v_fmac_f32_e32 v55, v29, v33
	v_fma_f32 v29, v27, v34, v108
	v_fmac_f32_e32 v55, v30, v29
	;; [unrolled: 2-line block ×3, first 2 shown]
	v_fma_f32 v29, v25, v36, v106
	ds_read_b128 v[33:36], v3 offset:128
	v_fmac_f32_e32 v55, v32, v29
	ds_read_b128 v[29:32], v3 offset:624
	s_waitcnt lgkmcnt(1)
	v_mul_f32_e32 v33, v66, v33
	s_waitcnt lgkmcnt(0)
	v_fmac_f32_e32 v28, v109, v29
	v_fmac_f32_e32 v27, v108, v30
	;; [unrolled: 1-line block ×3, first 2 shown]
	v_mul_f32_e32 v32, v66, v34
	v_mul_f32_e32 v30, v66, v35
	;; [unrolled: 1-line block ×3, first 2 shown]
	ds_read_b128 v[34:37], v3 offset:384
	ds_read_b128 v[38:41], v3 offset:896
	v_fmac_f32_e32 v26, v107, v31
	s_waitcnt lgkmcnt(0)
	v_fma_f32 v31, v33, v38, v105
	v_fmac_f32_e32 v55, v34, v31
	v_fma_f32 v31, v32, v39, v104
	v_fmac_f32_e32 v55, v35, v31
	;; [unrolled: 2-line block ×4, first 2 shown]
	ds_read_b128 v[34:37], v3 offset:640
	s_waitcnt lgkmcnt(0)
	v_fmac_f32_e32 v30, v103, v36
	v_fmac_f32_e32 v29, v102, v37
	ds_read_b128 v[36:39], v3 offset:144
	v_fmac_f32_e32 v33, v105, v34
	v_fmac_f32_e32 v32, v104, v35
	s_waitcnt lgkmcnt(0)
	v_mul_f32_e32 v35, v66, v37
	v_mul_f32_e32 v34, v66, v38
	v_mul_f32_e32 v31, v66, v39
	ds_read_b128 v[37:40], v3 offset:400
	ds_read_b128 v[41:44], v3 offset:912
	v_mul_f32_e32 v36, v66, v36
	s_waitcnt lgkmcnt(0)
	v_fma_f32 v41, v36, v41, v101
	v_fmac_f32_e32 v55, v37, v41
	v_fma_f32 v37, v35, v42, v100
	v_fmac_f32_e32 v55, v38, v37
	v_fma_f32 v37, v34, v43, v99
	v_fmac_f32_e32 v55, v39, v37
	v_fma_f32 v37, v31, v44, v98
	ds_read_b128 v[41:44], v3 offset:160
	v_fmac_f32_e32 v55, v40, v37
	ds_read_b128 v[37:40], v3 offset:656
	ds_read_b128 v[49:52], v3 offset:416
	;; [unrolled: 1-line block ×3, first 2 shown]
	s_waitcnt lgkmcnt(3)
	v_mul_f32_e32 v41, v66, v41
	s_waitcnt lgkmcnt(2)
	v_fmac_f32_e32 v34, v99, v39
	v_fmac_f32_e32 v31, v98, v40
	v_mul_f32_e32 v40, v66, v42
	s_waitcnt lgkmcnt(0)
	v_fma_f32 v39, v41, v56, v85
	v_fmac_f32_e32 v35, v100, v38
	v_mul_f32_e32 v38, v66, v43
	v_fmac_f32_e32 v36, v101, v37
	v_mul_f32_e32 v37, v66, v44
	v_fmac_f32_e32 v55, v49, v39
	v_fma_f32 v39, v40, v57, v84
	v_fmac_f32_e32 v55, v50, v39
	v_fma_f32 v39, v38, v58, v83
	;; [unrolled: 2-line block ×3, first 2 shown]
	v_fmac_f32_e32 v55, v52, v39
	ds_read_b128 v[49:52], v3 offset:672
	s_waitcnt lgkmcnt(0)
	v_fmac_f32_e32 v41, v85, v49
	v_fmac_f32_e32 v40, v84, v50
	;; [unrolled: 1-line block ×4, first 2 shown]
	ds_read_b128 v[49:52], v3 offset:176
	s_waitcnt lgkmcnt(0)
	v_mul_f32_e32 v44, v66, v49
	v_mul_f32_e32 v43, v66, v50
	;; [unrolled: 1-line block ×4, first 2 shown]
	ds_read_b128 v[49:52], v3 offset:432
	ds_read_b128 v[56:59], v3 offset:944
	s_waitcnt lgkmcnt(0)
	v_fma_f32 v53, v44, v56, v81
	v_fmac_f32_e32 v55, v49, v53
	v_fma_f32 v49, v43, v57, v80
	v_fmac_f32_e32 v55, v50, v49
	;; [unrolled: 2-line block ×4, first 2 shown]
	ds_read_b128 v[49:52], v3 offset:688
	s_waitcnt lgkmcnt(0)
	v_fmac_f32_e32 v43, v80, v50
	v_fmac_f32_e32 v42, v79, v51
	v_fmac_f32_e32 v39, v78, v52
	ds_read_b128 v[50:53], v3 offset:192
	v_fmac_f32_e32 v44, v81, v49
	ds_read_b128 v[56:59], v3 offset:448
	ds_read_b128 v[78:81], v3 offset:960
	s_waitcnt lgkmcnt(2)
	v_mul_f32_e32 v54, v66, v50
	v_mul_f32_e32 v51, v66, v51
	;; [unrolled: 1-line block ×4, first 2 shown]
	s_waitcnt lgkmcnt(0)
	v_fma_f32 v52, v54, v78, v77
	v_fmac_f32_e32 v55, v56, v52
	v_fma_f32 v52, v51, v79, v76
	v_fmac_f32_e32 v55, v57, v52
	v_fma_f32 v52, v50, v80, v75
	v_fmac_f32_e32 v55, v58, v52
	v_fma_f32 v52, v49, v81, v74
	v_fmac_f32_e32 v55, v59, v52
	ds_read_b128 v[56:59], v3 offset:704
	s_waitcnt lgkmcnt(0)
	v_fmac_f32_e32 v54, v77, v56
	v_fmac_f32_e32 v51, v76, v57
	;; [unrolled: 1-line block ×4, first 2 shown]
	ds_read_b128 v[74:77], v3 offset:208
	s_waitcnt lgkmcnt(0)
	v_mul_f32_e32 v58, v66, v74
	v_mul_f32_e32 v57, v66, v75
	;; [unrolled: 1-line block ×4, first 2 shown]
	ds_read_b128 v[74:77], v3 offset:464
	ds_read_b128 v[78:81], v3 offset:976
	s_waitcnt lgkmcnt(0)
	v_fma_f32 v56, v58, v78, v73
	v_fmac_f32_e32 v55, v74, v56
	v_fma_f32 v56, v57, v79, v72
	v_fmac_f32_e32 v55, v75, v56
	;; [unrolled: 2-line block ×4, first 2 shown]
	ds_read_b128 v[74:77], v3 offset:720
	s_waitcnt lgkmcnt(0)
	v_fmac_f32_e32 v52, v70, v77
	ds_read_b128 v[67:70], v3 offset:224
	v_fmac_f32_e32 v58, v73, v74
	v_fmac_f32_e32 v57, v72, v75
	;; [unrolled: 1-line block ×3, first 2 shown]
	s_waitcnt lgkmcnt(0)
	v_mul_f32_e32 v65, v66, v67
	v_mul_f32_e32 v60, v66, v68
	;; [unrolled: 1-line block ×4, first 2 shown]
	ds_read_b128 v[67:70], v3 offset:480
	ds_read_b128 v[71:74], v3 offset:992
	s_waitcnt lgkmcnt(0)
	v_fma_f32 v71, v65, v71, v64
	v_fmac_f32_e32 v55, v67, v71
	buffer_load_dword v71, off, s[24:27], 0 offset:32 ; 4-byte Folded Reload
	s_waitcnt vmcnt(0)
	v_fma_f32 v67, v60, v72, v71
	v_fmac_f32_e32 v55, v68, v67
	v_fma_f32 v67, v59, v73, v1
	v_fmac_f32_e32 v55, v69, v67
	v_fma_f32 v67, v56, v74, v0
	v_fmac_f32_e32 v55, v70, v67
	ds_read_b128 v[67:70], v3 offset:736
	s_waitcnt lgkmcnt(0)
	v_fmac_f32_e32 v60, v71, v68
	v_fmac_f32_e32 v59, v1, v69
	;; [unrolled: 1-line block ×3, first 2 shown]
	ds_read_b128 v[69:72], v3 offset:240
	v_fmac_f32_e32 v65, v64, v67
	s_waitcnt lgkmcnt(0)
	v_mul_f32_e32 v69, v66, v69
	v_mul_f32_e32 v68, v66, v70
	;; [unrolled: 1-line block ×4, first 2 shown]
	ds_read_b128 v[70:73], v3 offset:496
	ds_read_b128 v[74:77], v3 offset:1008
	s_clause 0x2
	buffer_load_dword v78, off, s[24:27], 0 offset:24
	buffer_load_dword v64, off, s[24:27], 0 offset:8
	buffer_load_dword v1, off, s[24:27], 0
	s_waitcnt vmcnt(2) lgkmcnt(0)
	v_fma_f32 v0, v69, v74, v78
	buffer_load_dword v74, off, s[24:27], 0 offset:16 ; 4-byte Folded Reload
	v_fmac_f32_e32 v55, v70, v0
	s_waitcnt vmcnt(0)
	v_fma_f32 v0, v68, v75, v74
	v_fmac_f32_e32 v55, v71, v0
	v_fma_f32 v0, v67, v76, v64
	v_fmac_f32_e32 v55, v72, v0
	;; [unrolled: 2-line block ×3, first 2 shown]
	ds_read_b128 v[70:73], v3 offset:752
	v_add_co_u32 v0, vcc_lo, s12, v5
	s_waitcnt lgkmcnt(0)
	v_fmac_f32_e32 v69, v78, v70
	v_fmac_f32_e32 v68, v74, v71
	s_clause 0x1
	buffer_load_dword v70, off, s[24:27], 0 offset:48
	buffer_load_dword v71, off, s[24:27], 0 offset:52
	v_fmac_f32_e32 v66, v1, v73
	v_add_co_ci_u32_e64 v1, null, s13, v6, vcc_lo
	v_add_co_u32 v5, vcc_lo, v5, s6
	v_add_co_ci_u32_e64 v6, null, s7, v6, vcc_lo
	v_fmac_f32_e32 v67, v64, v72
	global_store_dword v[0:1], v55, off
	s_waitcnt vmcnt(1)
	v_cmp_ge_i32_e32 vcc_lo, v2, v70
	s_or_b32 s10, vcc_lo, s10
	s_andn2_b32 exec_lo, exec_lo, s10
	s_cbranch_execnz .LBB0_2
; %bb.3:
	s_or_b32 exec_lo, exec_lo, s10
.LBB0_4:
	s_or_b32 exec_lo, exec_lo, s11
	s_clause 0x1
	buffer_load_dword v0, off, s[24:27], 0 offset:64
	buffer_load_dword v1, off, s[24:27], 0 offset:68
	s_waitcnt vmcnt(0)
	v_mad_u64_u32 v[0:1], null, s18, s17, v[0:1]
	v_add_nc_u32_e32 v2, 0x200, v0
	v_ashrrev_i32_e32 v1, 31, v0
	v_add_nc_u32_e32 v5, 0x240, v0
	v_add_nc_u32_e32 v72, 0x280, v0
	v_ashrrev_i32_e32 v3, 31, v2
	v_lshlrev_b64 v[70:71], 2, v[0:1]
	v_add_nc_u32_e32 v1, 0x2c0, v0
	v_ashrrev_i32_e32 v6, 31, v5
	v_ashrrev_i32_e32 v73, 31, v72
	v_lshlrev_b64 v[2:3], 2, v[2:3]
	v_add_co_u32 v70, vcc_lo, s12, v70
	v_add_co_ci_u32_e64 v71, null, s13, v71, vcc_lo
	v_add_co_u32 v2, vcc_lo, s12, v2
	v_add_co_ci_u32_e64 v3, null, s13, v3, vcc_lo
	global_store_dword v[70:71], v63, off
	global_store_dword v[70:71], v62, off offset:256
	global_store_dword v[70:71], v61, off offset:512
	;; [unrolled: 1-line block ×7, first 2 shown]
	global_store_dword v[2:3], v10, off
	v_ashrrev_i32_e32 v2, 31, v1
	v_lshlrev_b64 v[5:6], 2, v[5:6]
	v_lshlrev_b64 v[3:4], 2, v[72:73]
	v_add_nc_u32_e32 v45, 0x300, v0
	v_add_nc_u32_e32 v47, 0x340, v0
	v_lshlrev_b64 v[1:2], 2, v[1:2]
	v_add_co_u32 v5, vcc_lo, s12, v5
	v_add_co_ci_u32_e64 v6, null, s13, v6, vcc_lo
	v_add_co_u32 v3, vcc_lo, s12, v3
	v_ashrrev_i32_e32 v46, 31, v45
	v_add_co_ci_u32_e64 v4, null, s13, v4, vcc_lo
	v_add_co_u32 v1, vcc_lo, s12, v1
	v_ashrrev_i32_e32 v48, 31, v47
	v_add_co_ci_u32_e64 v2, null, s13, v2, vcc_lo
	global_store_dword v[5:6], v9, off
	v_lshlrev_b64 v[5:6], 2, v[45:46]
	global_store_dword v[3:4], v95, off
	global_store_dword v[1:2], v94, off
	v_lshlrev_b64 v[1:2], 2, v[47:48]
	v_add_nc_u32_e32 v3, 0x380, v0
	v_add_nc_u32_e32 v9, 0x3c0, v0
	;; [unrolled: 1-line block ×3, first 2 shown]
	v_add_co_u32 v5, vcc_lo, s12, v5
	v_ashrrev_i32_e32 v4, 31, v3
	v_add_co_ci_u32_e64 v6, null, s13, v6, vcc_lo
	v_add_co_u32 v1, vcc_lo, s12, v1
	v_ashrrev_i32_e32 v10, 31, v9
	v_add_co_ci_u32_e64 v2, null, s13, v2, vcc_lo
	v_ashrrev_i32_e32 v46, 31, v45
	v_lshlrev_b64 v[3:4], 2, v[3:4]
	global_store_dword v[5:6], v12, off
	global_store_dword v[1:2], v11, off
	v_lshlrev_b64 v[1:2], 2, v[9:10]
	v_add_nc_u32_e32 v9, 0x440, v0
	v_lshlrev_b64 v[5:6], 2, v[45:46]
	v_add_nc_u32_e32 v11, 0x480, v0
	v_add_co_u32 v3, vcc_lo, s12, v3
	v_add_co_ci_u32_e64 v4, null, s13, v4, vcc_lo
	v_add_co_u32 v1, vcc_lo, s12, v1
	v_add_co_ci_u32_e64 v2, null, s13, v2, vcc_lo
	;; [unrolled: 2-line block ×3, first 2 shown]
	v_ashrrev_i32_e32 v10, 31, v9
	v_ashrrev_i32_e32 v12, 31, v11
	global_store_dword v[3:4], v8, off
	global_store_dword v[1:2], v7, off
	global_store_dword v[5:6], v18, off
	v_add_nc_u32_e32 v5, 0x4c0, v0
	v_lshlrev_b64 v[3:4], 2, v[9:10]
	v_lshlrev_b64 v[1:2], 2, v[11:12]
	v_add_nc_u32_e32 v7, 0x500, v0
	v_add_nc_u32_e32 v9, 0x540, v0
	v_ashrrev_i32_e32 v6, 31, v5
	v_add_co_u32 v3, vcc_lo, s12, v3
	v_add_co_ci_u32_e64 v4, null, s13, v4, vcc_lo
	v_add_co_u32 v1, vcc_lo, s12, v1
	v_lshlrev_b64 v[5:6], 2, v[5:6]
	v_ashrrev_i32_e32 v8, 31, v7
	v_add_co_ci_u32_e64 v2, null, s13, v2, vcc_lo
	v_ashrrev_i32_e32 v10, 31, v9
	global_store_dword v[3:4], v15, off
	global_store_dword v[1:2], v14, off
	v_lshlrev_b64 v[1:2], 2, v[7:8]
	v_add_co_u32 v3, vcc_lo, s12, v5
	v_add_co_ci_u32_e64 v4, null, s13, v6, vcc_lo
	v_lshlrev_b64 v[5:6], 2, v[9:10]
	v_add_nc_u32_e32 v7, 0x580, v0
	v_add_co_u32 v1, vcc_lo, s12, v1
	v_add_co_ci_u32_e64 v2, null, s13, v2, vcc_lo
	v_add_nc_u32_e32 v9, 0x5c0, v0
	v_add_co_u32 v5, vcc_lo, s12, v5
	v_add_co_ci_u32_e64 v6, null, s13, v6, vcc_lo
	v_ashrrev_i32_e32 v8, 31, v7
	v_ashrrev_i32_e32 v10, 31, v9
	global_store_dword v[3:4], v13, off
	global_store_dword v[1:2], v21, off
	global_store_dword v[5:6], v20, off
	v_add_nc_u32_e32 v5, 0x600, v0
	v_lshlrev_b64 v[3:4], 2, v[7:8]
	v_lshlrev_b64 v[1:2], 2, v[9:10]
	v_add_nc_u32_e32 v7, 0x640, v0
	v_add_nc_u32_e32 v9, 0x680, v0
	v_ashrrev_i32_e32 v6, 31, v5
	v_add_co_u32 v3, vcc_lo, s12, v3
	v_add_co_ci_u32_e64 v4, null, s13, v4, vcc_lo
	v_add_co_u32 v1, vcc_lo, s12, v1
	v_lshlrev_b64 v[5:6], 2, v[5:6]
	v_ashrrev_i32_e32 v8, 31, v7
	v_add_co_ci_u32_e64 v2, null, s13, v2, vcc_lo
	v_ashrrev_i32_e32 v10, 31, v9
	global_store_dword v[3:4], v17, off
	global_store_dword v[1:2], v16, off
	v_lshlrev_b64 v[1:2], 2, v[7:8]
	v_add_co_u32 v3, vcc_lo, s12, v5
	v_add_co_ci_u32_e64 v4, null, s13, v6, vcc_lo
	v_lshlrev_b64 v[5:6], 2, v[9:10]
	v_add_nc_u32_e32 v7, 0x6c0, v0
	v_add_co_u32 v1, vcc_lo, s12, v1
	v_add_co_ci_u32_e64 v2, null, s13, v2, vcc_lo
	v_add_nc_u32_e32 v9, 0x700, v0
	v_add_co_u32 v5, vcc_lo, s12, v5
	v_add_co_ci_u32_e64 v6, null, s13, v6, vcc_lo
	;; [unrolled: 30-line block ×7, first 2 shown]
	v_ashrrev_i32_e32 v8, 31, v7
	v_ashrrev_i32_e32 v10, 31, v9
	global_store_dword v[3:4], v51, off
	global_store_dword v[1:2], v50, off
	;; [unrolled: 1-line block ×3, first 2 shown]
	v_add_nc_u32_e32 v5, 0xd80, v0
	v_lshlrev_b64 v[3:4], 2, v[7:8]
	v_lshlrev_b64 v[1:2], 2, v[9:10]
	v_add_nc_u32_e32 v7, 0xdc0, v0
	v_add_nc_u32_e32 v9, 0xe00, v0
	v_ashrrev_i32_e32 v6, 31, v5
	v_add_co_u32 v3, vcc_lo, s12, v3
	v_add_co_ci_u32_e64 v4, null, s13, v4, vcc_lo
	v_add_co_u32 v1, vcc_lo, s12, v1
	v_lshlrev_b64 v[5:6], 2, v[5:6]
	v_ashrrev_i32_e32 v8, 31, v7
	v_add_co_ci_u32_e64 v2, null, s13, v2, vcc_lo
	v_ashrrev_i32_e32 v10, 31, v9
	global_store_dword v[3:4], v58, off
	global_store_dword v[1:2], v57, off
	v_lshlrev_b64 v[1:2], 2, v[7:8]
	v_add_co_u32 v3, vcc_lo, s12, v5
	v_add_co_ci_u32_e64 v4, null, s13, v6, vcc_lo
	v_lshlrev_b64 v[5:6], 2, v[9:10]
	v_add_nc_u32_e32 v7, 0xe40, v0
	v_add_nc_u32_e32 v9, 0xe80, v0
	v_add_co_u32 v1, vcc_lo, s12, v1
	v_add_co_ci_u32_e64 v2, null, s13, v2, vcc_lo
	v_ashrrev_i32_e32 v8, 31, v7
	v_add_co_u32 v5, vcc_lo, s12, v5
	v_ashrrev_i32_e32 v10, 31, v9
	v_add_co_ci_u32_e64 v6, null, s13, v6, vcc_lo
	global_store_dword v[3:4], v53, off
	v_lshlrev_b64 v[3:4], 2, v[7:8]
	global_store_dword v[1:2], v52, off
	global_store_dword v[5:6], v65, off
	v_lshlrev_b64 v[1:2], 2, v[9:10]
	v_add_nc_u32_e32 v5, 0xec0, v0
	v_add_nc_u32_e32 v7, 0xf00, v0
	;; [unrolled: 1-line block ×3, first 2 shown]
	v_add_co_u32 v3, vcc_lo, s12, v3
	v_add_co_ci_u32_e64 v4, null, s13, v4, vcc_lo
	v_ashrrev_i32_e32 v6, 31, v5
	v_add_co_u32 v1, vcc_lo, s12, v1
	v_add_co_ci_u32_e64 v2, null, s13, v2, vcc_lo
	v_ashrrev_i32_e32 v8, 31, v7
	global_store_dword v[3:4], v60, off
	v_lshlrev_b64 v[3:4], 2, v[5:6]
	v_add_nc_u32_e32 v5, 0xf80, v0
	global_store_dword v[1:2], v59, off
	v_lshlrev_b64 v[1:2], 2, v[7:8]
	v_ashrrev_i32_e32 v10, 31, v9
	v_add_nc_u32_e32 v0, 0xfc0, v0
	v_add_co_u32 v3, vcc_lo, s12, v3
	v_ashrrev_i32_e32 v6, 31, v5
	v_add_co_ci_u32_e64 v4, null, s13, v4, vcc_lo
	v_lshlrev_b64 v[7:8], 2, v[9:10]
	v_add_co_u32 v9, vcc_lo, s12, v1
	v_ashrrev_i32_e32 v1, 31, v0
	v_lshlrev_b64 v[5:6], 2, v[5:6]
	v_add_co_ci_u32_e64 v10, null, s13, v2, vcc_lo
	v_add_co_u32 v7, vcc_lo, s12, v7
	v_lshlrev_b64 v[0:1], 2, v[0:1]
	v_add_co_ci_u32_e64 v8, null, s13, v8, vcc_lo
	v_add_co_u32 v5, vcc_lo, s12, v5
	v_add_co_ci_u32_e64 v6, null, s13, v6, vcc_lo
	v_add_co_u32 v0, vcc_lo, s12, v0
	v_add_co_ci_u32_e64 v1, null, s13, v1, vcc_lo
	global_store_dword v[3:4], v56, off
	global_store_dword v[9:10], v69, off
	;; [unrolled: 1-line block ×5, first 2 shown]
	s_endpgm
	.section	.rodata,"a",@progbits
	.p2align	6, 0x0
	.amdhsa_kernel _ZL12rwkv_wkv_f32ILi64EEviiiiPKfS1_S1_S1_S1_S1_Pf
		.amdhsa_group_segment_fixed_size 1024
		.amdhsa_private_segment_fixed_size 76
		.amdhsa_kernarg_size 72
		.amdhsa_user_sgpr_count 6
		.amdhsa_user_sgpr_private_segment_buffer 1
		.amdhsa_user_sgpr_dispatch_ptr 0
		.amdhsa_user_sgpr_queue_ptr 0
		.amdhsa_user_sgpr_kernarg_segment_ptr 1
		.amdhsa_user_sgpr_dispatch_id 0
		.amdhsa_user_sgpr_flat_scratch_init 0
		.amdhsa_user_sgpr_private_segment_size 0
		.amdhsa_wavefront_size32 1
		.amdhsa_uses_dynamic_stack 0
		.amdhsa_system_sgpr_private_segment_wavefront_offset 1
		.amdhsa_system_sgpr_workgroup_id_x 1
		.amdhsa_system_sgpr_workgroup_id_y 0
		.amdhsa_system_sgpr_workgroup_id_z 0
		.amdhsa_system_sgpr_workgroup_info 0
		.amdhsa_system_vgpr_workitem_id 0
		.amdhsa_next_free_vgpr 128
		.amdhsa_next_free_sgpr 28
		.amdhsa_reserve_vcc 1
		.amdhsa_reserve_flat_scratch 0
		.amdhsa_float_round_mode_32 0
		.amdhsa_float_round_mode_16_64 0
		.amdhsa_float_denorm_mode_32 3
		.amdhsa_float_denorm_mode_16_64 3
		.amdhsa_dx10_clamp 1
		.amdhsa_ieee_mode 1
		.amdhsa_fp16_overflow 0
		.amdhsa_workgroup_processor_mode 1
		.amdhsa_memory_ordered 1
		.amdhsa_forward_progress 1
		.amdhsa_shared_vgpr_count 0
		.amdhsa_exception_fp_ieee_invalid_op 0
		.amdhsa_exception_fp_denorm_src 0
		.amdhsa_exception_fp_ieee_div_zero 0
		.amdhsa_exception_fp_ieee_overflow 0
		.amdhsa_exception_fp_ieee_underflow 0
		.amdhsa_exception_fp_ieee_inexact 0
		.amdhsa_exception_int_div_zero 0
	.end_amdhsa_kernel
	.section	.text._ZL12rwkv_wkv_f32ILi64EEviiiiPKfS1_S1_S1_S1_S1_Pf,"axG",@progbits,_ZL12rwkv_wkv_f32ILi64EEviiiiPKfS1_S1_S1_S1_S1_Pf,comdat
.Lfunc_end0:
	.size	_ZL12rwkv_wkv_f32ILi64EEviiiiPKfS1_S1_S1_S1_S1_Pf, .Lfunc_end0-_ZL12rwkv_wkv_f32ILi64EEviiiiPKfS1_S1_S1_S1_S1_Pf
                                        ; -- End function
	.set _ZL12rwkv_wkv_f32ILi64EEviiiiPKfS1_S1_S1_S1_S1_Pf.num_vgpr, 128
	.set _ZL12rwkv_wkv_f32ILi64EEviiiiPKfS1_S1_S1_S1_S1_Pf.num_agpr, 0
	.set _ZL12rwkv_wkv_f32ILi64EEviiiiPKfS1_S1_S1_S1_S1_Pf.numbered_sgpr, 28
	.set _ZL12rwkv_wkv_f32ILi64EEviiiiPKfS1_S1_S1_S1_S1_Pf.num_named_barrier, 0
	.set _ZL12rwkv_wkv_f32ILi64EEviiiiPKfS1_S1_S1_S1_S1_Pf.private_seg_size, 76
	.set _ZL12rwkv_wkv_f32ILi64EEviiiiPKfS1_S1_S1_S1_S1_Pf.uses_vcc, 1
	.set _ZL12rwkv_wkv_f32ILi64EEviiiiPKfS1_S1_S1_S1_S1_Pf.uses_flat_scratch, 0
	.set _ZL12rwkv_wkv_f32ILi64EEviiiiPKfS1_S1_S1_S1_S1_Pf.has_dyn_sized_stack, 0
	.set _ZL12rwkv_wkv_f32ILi64EEviiiiPKfS1_S1_S1_S1_S1_Pf.has_recursion, 0
	.set _ZL12rwkv_wkv_f32ILi64EEviiiiPKfS1_S1_S1_S1_S1_Pf.has_indirect_call, 0
	.section	.AMDGPU.csdata,"",@progbits
; Kernel info:
; codeLenInByte = 8556
; TotalNumSgprs: 30
; NumVgprs: 128
; ScratchSize: 76
; MemoryBound: 0
; FloatMode: 240
; IeeeMode: 1
; LDSByteSize: 1024 bytes/workgroup (compile time only)
; SGPRBlocks: 0
; VGPRBlocks: 15
; NumSGPRsForWavesPerEU: 30
; NumVGPRsForWavesPerEU: 128
; Occupancy: 8
; WaveLimiterHint : 1
; COMPUTE_PGM_RSRC2:SCRATCH_EN: 1
; COMPUTE_PGM_RSRC2:USER_SGPR: 6
; COMPUTE_PGM_RSRC2:TRAP_HANDLER: 0
; COMPUTE_PGM_RSRC2:TGID_X_EN: 1
; COMPUTE_PGM_RSRC2:TGID_Y_EN: 0
; COMPUTE_PGM_RSRC2:TGID_Z_EN: 0
; COMPUTE_PGM_RSRC2:TIDIG_COMP_CNT: 0
	.section	.text._ZL12rwkv_wkv_f32ILi128EEviiiiPKfS1_S1_S1_S1_S1_Pf,"axG",@progbits,_ZL12rwkv_wkv_f32ILi128EEviiiiPKfS1_S1_S1_S1_S1_Pf,comdat
	.globl	_ZL12rwkv_wkv_f32ILi128EEviiiiPKfS1_S1_S1_S1_S1_Pf ; -- Begin function _ZL12rwkv_wkv_f32ILi128EEviiiiPKfS1_S1_S1_S1_S1_Pf
	.p2align	8
	.type	_ZL12rwkv_wkv_f32ILi128EEviiiiPKfS1_S1_S1_S1_S1_Pf,@function
_ZL12rwkv_wkv_f32ILi128EEviiiiPKfS1_S1_S1_S1_S1_Pf: ; @_ZL12rwkv_wkv_f32ILi128EEviiiiPKfS1_S1_S1_S1_S1_Pf
; %bb.0:
	s_mov_b64 s[30:31], s[2:3]
	s_mov_b64 s[28:29], s[0:1]
	s_clause 0x2
	s_load_dwordx4 s[0:3], s[4:5], 0x0
	s_load_dwordx8 s[16:23], s[4:5], 0x10
	s_load_dwordx8 s[8:15], s[4:5], 0x30
	s_add_u32 s28, s28, s7
	s_addc_u32 s29, s29, 0
	s_abs_i32 s5, s6
	s_mov_b32 s7, 0
	s_waitcnt lgkmcnt(0)
	s_abs_i32 s14, s3
	s_xor_b32 s4, s6, s3
	v_cvt_f32_u32_e32 v1, s14
	s_sub_i32 s15, 0, s14
	s_ashr_i32 s4, s4, 31
	v_rcp_iflag_f32_e32 v1, v1
	v_mul_f32_e32 v1, 0x4f7ffffe, v1
	v_cvt_u32_f32_e32 v1, v1
	v_readfirstlane_b32 s24, v1
	s_mul_i32 s15, s15, s24
	s_mul_hi_u32 s15, s24, s15
	s_add_i32 s24, s24, s15
	s_mul_hi_u32 s15, s5, s24
	s_mul_i32 s24, s15, s14
	s_sub_i32 s5, s5, s24
	s_add_i32 s24, s15, 1
	s_sub_i32 s25, s5, s14
	s_cmp_ge_u32 s5, s14
	s_cselect_b32 s15, s24, s15
	s_cselect_b32 s5, s25, s5
	s_add_i32 s24, s15, 1
	s_cmp_ge_u32 s5, s14
	s_cselect_b32 s5, s24, s15
	s_xor_b32 s5, s5, s4
	s_sub_i32 s4, s5, s4
	s_mul_i32 s3, s4, s3
	s_mul_i32 s5, s2, s4
	s_sub_i32 s3, s6, s3
	s_lshl_b32 s5, s5, 7
	s_lshl_b32 s6, s3, 14
	v_add3_u32 v8, s6, s5, v0
	s_xor_b32 s5, s1, s0
	s_abs_i32 s0, s0
	s_abs_i32 s6, s1
	s_ashr_i32 s5, s5, 31
	v_ashrrev_i32_e32 v9, 31, v8
	v_lshlrev_b64 v[1:2], 2, v[8:9]
	v_add_co_u32 v1, vcc_lo, s10, v1
	v_add_co_ci_u32_e64 v2, null, s11, v2, vcc_lo
	global_load_dword v3, v[1:2], off
	s_waitcnt vmcnt(0)
	buffer_store_dword v3, off, s[28:31], 0 offset:12 ; 4-byte Folded Spill
	global_load_dword v3, v[1:2], off offset:512
	s_waitcnt vmcnt(0)
	buffer_store_dword v3, off, s[28:31], 0 offset:8 ; 4-byte Folded Spill
	s_clause 0x1
	global_load_dword v3, v[1:2], off offset:1024
	global_load_dword v1, v[1:2], off offset:1536
	s_waitcnt vmcnt(1)
	buffer_store_dword v3, off, s[28:31], 0 offset:4 ; 4-byte Folded Spill
	s_waitcnt vmcnt(0)
	buffer_store_dword v1, off, s[28:31], 0 ; 4-byte Folded Spill
	v_add_nc_u32_e32 v1, 0x200, v8
	v_ashrrev_i32_e32 v2, 31, v1
	v_lshlrev_b64 v[1:2], 2, v[1:2]
	v_add_co_u32 v1, vcc_lo, s10, v1
	v_add_co_ci_u32_e64 v2, null, s11, v2, vcc_lo
	global_load_dword v1, v[1:2], off
	s_waitcnt vmcnt(0)
	buffer_store_dword v1, off, s[28:31], 0 offset:16 ; 4-byte Folded Spill
	v_add_nc_u32_e32 v1, 0x280, v8
	v_ashrrev_i32_e32 v2, 31, v1
	v_lshlrev_b64 v[1:2], 2, v[1:2]
	v_add_co_u32 v1, vcc_lo, s10, v1
	v_add_co_ci_u32_e64 v2, null, s11, v2, vcc_lo
	global_load_dword v1, v[1:2], off
	s_waitcnt vmcnt(0)
	buffer_store_dword v1, off, s[28:31], 0 offset:48 ; 4-byte Folded Spill
	v_add_nc_u32_e32 v1, 0x300, v8
	v_ashrrev_i32_e32 v2, 31, v1
	v_lshlrev_b64 v[1:2], 2, v[1:2]
	v_add_co_u32 v1, vcc_lo, s10, v1
	v_add_co_ci_u32_e64 v2, null, s11, v2, vcc_lo
	global_load_dword v47, v[1:2], off
	v_add_nc_u32_e32 v1, 0x380, v8
	v_ashrrev_i32_e32 v2, 31, v1
	v_lshlrev_b64 v[1:2], 2, v[1:2]
	v_add_co_u32 v1, vcc_lo, s10, v1
	v_add_co_ci_u32_e64 v2, null, s11, v2, vcc_lo
	global_load_dword v46, v[1:2], off
	;; [unrolled: 6-line block ×24, first 2 shown]
	s_waitcnt vmcnt(0)
	buffer_store_dword v1, off, s[28:31], 0 offset:44 ; 4-byte Folded Spill
	v_add_nc_u32_e32 v1, 0xf00, v8
	v_ashrrev_i32_e32 v2, 31, v1
	v_lshlrev_b64 v[1:2], 2, v[1:2]
	v_add_co_u32 v1, vcc_lo, s10, v1
	v_add_co_ci_u32_e64 v2, null, s11, v2, vcc_lo
	global_load_dword v1, v[1:2], off
	s_waitcnt vmcnt(0)
	buffer_store_dword v1, off, s[28:31], 0 offset:40 ; 4-byte Folded Spill
	v_add_nc_u32_e32 v1, 0xf80, v8
	v_ashrrev_i32_e32 v2, 31, v1
	v_lshlrev_b64 v[1:2], 2, v[1:2]
	v_add_co_u32 v1, vcc_lo, s10, v1
	v_add_co_ci_u32_e64 v2, null, s11, v2, vcc_lo
	global_load_dword v1, v[1:2], off
	;; [unrolled: 8-line block ×7, first 2 shown]
	v_add_nc_u32_e32 v1, 0x1280, v8
	v_ashrrev_i32_e32 v2, 31, v1
	v_lshlrev_b64 v[1:2], 2, v[1:2]
	v_add_co_u32 v1, vcc_lo, s10, v1
	v_add_co_ci_u32_e64 v2, null, s11, v2, vcc_lo
	global_load_dword v55, v[1:2], off
	v_add_nc_u32_e32 v1, 0x1300, v8
	v_ashrrev_i32_e32 v2, 31, v1
	v_lshlrev_b64 v[1:2], 2, v[1:2]
	v_add_co_u32 v1, vcc_lo, s10, v1
	v_add_co_ci_u32_e64 v2, null, s11, v2, vcc_lo
	global_load_dword v54, v[1:2], off
	;; [unrolled: 6-line block ×90, first 2 shown]
	v_add_nc_u32_e32 v1, 0x3f80, v8
	v_ashrrev_i32_e32 v2, 31, v1
	v_lshlrev_b64 v[1:2], 2, v[1:2]
	v_add_co_u32 v1, vcc_lo, s10, v1
	v_add_co_ci_u32_e64 v2, null, s11, v2, vcc_lo
	s_sub_i32 s10, 0, s0
	global_load_dword v5, v[1:2], off
	v_cvt_f32_u32_e32 v1, s0
	s_waitcnt vmcnt(0)
	s_waitcnt_vscnt null, 0x0
	s_barrier
	buffer_gl0_inv
	v_rcp_iflag_f32_e32 v1, v1
	v_mul_f32_e32 v1, 0x4f7ffffe, v1
	v_cvt_u32_f32_e32 v1, v1
	v_readfirstlane_b32 s11, v1
	v_lshl_add_u32 v1, s3, 7, v0
	s_mul_i32 s10, s10, s11
	v_ashrrev_i32_e32 v2, 31, v1
	s_mul_hi_u32 s10, s11, s10
	s_add_i32 s11, s11, s10
	v_lshlrev_b64 v[2:3], 2, v[1:2]
	s_mul_hi_u32 s10, s6, s11
	s_mul_i32 s11, s10, s0
	s_sub_i32 s6, s6, s11
	v_add_co_u32 v2, vcc_lo, s22, v2
	v_add_co_ci_u32_e64 v3, null, s23, v3, vcc_lo
	s_add_i32 s11, s10, 1
	s_sub_i32 s14, s6, s0
	s_cmp_ge_u32 s6, s0
	global_load_dword v2, v[2:3], off
	s_cselect_b32 s10, s11, s10
	s_cselect_b32 s6, s14, s6
	s_add_i32 s11, s10, 1
	s_cmp_ge_u32 s6, s0
	v_lshlrev_b32_e32 v3, 2, v0
	s_cselect_b32 s0, s11, s10
	s_xor_b32 s0, s0, s5
	s_sub_i32 s0, s0, s5
	s_mul_i32 s0, s0, s2
	s_waitcnt vmcnt(0)
	v_mad_u64_u32 v[49:50], null, s0, s4, v[1:2]
	s_add_i32 s4, s4, 1
	ds_write_b32 v3, v2 offset:1536
	v_mad_u64_u32 v[0:1], null, s0, s4, v[1:2]
	s_mov_b32 s0, exec_lo
	s_waitcnt lgkmcnt(0)
	s_barrier
	buffer_gl0_inv
	v_cmpx_lt_i32_e64 v49, v0
	s_cbranch_execz .LBB1_4
; %bb.1:
	v_ashrrev_i32_e32 v50, 31, v49
	buffer_store_dword v8, off, s[28:31], 0 offset:440 ; 4-byte Folded Spill
	buffer_store_dword v9, off, s[28:31], 0 offset:444 ; 4-byte Folded Spill
	v_mov_b32_e32 v6, 0
	s_ashr_i32 s3, s2, 31
	buffer_store_dword v3, off, s[28:31], 0 offset:428 ; 4-byte Folded Spill
	buffer_store_dword v0, off, s[28:31], 0 offset:432 ; 4-byte Folded Spill
	;; [unrolled: 1-line block ×3, first 2 shown]
	v_lshlrev_b64 v[8:9], 2, v[49:50]
	s_lshl_b64 s[4:5], s[2:3], 2
.LBB1_2:                                ; =>This Inner Loop Header: Depth=1
	v_add_co_u32 v0, vcc_lo, s16, v8
	v_add_co_ci_u32_e64 v1, null, s17, v9, vcc_lo
	buffer_store_dword v49, off, s[28:31], 0 offset:52 ; 4-byte Folded Spill
	s_waitcnt vmcnt(0)
	buffer_store_dword v50, off, s[28:31], 0 offset:56 ; 4-byte Folded Spill
	s_clause 0x5
	buffer_load_dword v53, off, s[28:31], 0 offset:12
	buffer_load_dword v52, off, s[28:31], 0 offset:8
	;; [unrolled: 1-line block ×3, first 2 shown]
	buffer_load_dword v50, off, s[28:31], 0
	buffer_load_dword v49, off, s[28:31], 0 offset:16
	buffer_load_dword v48, off, s[28:31], 0 offset:48
	buffer_store_dword v56, off, s[28:31], 0 offset:424 ; 4-byte Folded Spill
	buffer_store_dword v55, off, s[28:31], 0 offset:420 ; 4-byte Folded Spill
	;; [unrolled: 1-line block ×92, first 2 shown]
	s_waitcnt vmcnt(0)
	s_waitcnt_vscnt null, 0x0
	s_barrier
	buffer_gl0_inv
	global_load_dword v0, v[0:1], off
	s_waitcnt vmcnt(0)
	ds_write_b32 v3, v0
	v_add_co_u32 v0, vcc_lo, s20, v8
	v_add_co_ci_u32_e64 v1, null, s21, v9, vcc_lo
	global_load_dword v0, v[0:1], off
	v_add_nc_u32_e32 v1, 0x200, v3
	s_waitcnt vmcnt(0)
	ds_write_b32 v1, v0
	v_add_co_u32 v0, vcc_lo, s8, v8
	v_add_co_ci_u32_e64 v1, null, s9, v9, vcc_lo
	global_load_dword v0, v[0:1], off
	v_add_nc_u32_e32 v1, 0x400, v3
	s_waitcnt vmcnt(0)
	ds_write_b32 v1, v0
	v_add_co_u32 v0, vcc_lo, s18, v8
	v_add_co_ci_u32_e64 v1, null, s19, v9, vcc_lo
	s_waitcnt lgkmcnt(0)
	s_barrier
	buffer_gl0_inv
	global_load_dword v5, v[0:1], off
	ds_read_b128 v[10:13], v6
	ds_read_b128 v[14:17], v6 offset:16
	ds_read_b128 v[54:57], v6 offset:32
	;; [unrolled: 1-line block ×3, first 2 shown]
	s_waitcnt vmcnt(0) lgkmcnt(3)
	v_mul_f32_e32 v64, v5, v10
	v_mul_f32_e32 v63, v5, v11
	v_mul_f32_e32 v62, v5, v12
	v_mul_f32_e32 v7, v5, v13
	ds_read_b128 v[10:13], v6 offset:512
	ds_read_b128 v[58:61], v6 offset:1536
	s_waitcnt lgkmcnt(4)
	v_mul_f32_e32 v15, v5, v15
	v_mul_f32_e32 v16, v5, v16
	;; [unrolled: 1-line block ×3, first 2 shown]
	s_waitcnt lgkmcnt(0)
	v_fma_f32 v4, v64, v58, v53
	v_fma_f32 v10, v10, v4, 0
	;; [unrolled: 1-line block ×3, first 2 shown]
	v_fmac_f32_e32 v10, v11, v4
	v_fma_f32 v4, v62, v60, v51
	v_fmac_f32_e32 v10, v12, v4
	v_fma_f32 v4, v7, v61, v50
	ds_read_b128 v[58:61], v6 offset:1024
	v_fmac_f32_e32 v10, v13, v4
	s_waitcnt lgkmcnt(0)
	v_fmac_f32_e32 v64, v53, v58
	v_fmac_f32_e32 v63, v52, v59
	;; [unrolled: 1-line block ×4, first 2 shown]
	buffer_store_dword v64, off, s[28:31], 0 offset:12 ; 4-byte Folded Spill
	buffer_store_dword v63, off, s[28:31], 0 offset:8 ; 4-byte Folded Spill
	buffer_store_dword v62, off, s[28:31], 0 offset:4 ; 4-byte Folded Spill
	buffer_store_dword v7, off, s[28:31], 0 ; 4-byte Folded Spill
	v_mul_f32_e32 v7, v5, v14
	ds_read_b128 v[11:14], v6 offset:528
	ds_read_b128 v[50:53], v6 offset:1552
	s_waitcnt lgkmcnt(0)
	v_fma_f32 v4, v7, v50, v49
	v_mul_f32_e32 v50, v5, v54
	v_fmac_f32_e32 v10, v11, v4
	v_fma_f32 v4, v15, v51, v48
	v_mul_f32_e32 v51, v5, v55
	v_fmac_f32_e32 v10, v12, v4
	;; [unrolled: 3-line block ×4, first 2 shown]
	ds_read_b128 v[11:14], v6 offset:1040
	s_waitcnt lgkmcnt(0)
	v_fmac_f32_e32 v7, v49, v11
	v_fmac_f32_e32 v15, v48, v12
	;; [unrolled: 1-line block ×4, first 2 shown]
	buffer_store_dword v7, off, s[28:31], 0 offset:16 ; 4-byte Folded Spill
	buffer_store_dword v15, off, s[28:31], 0 offset:48 ; 4-byte Folded Spill
	ds_read_b128 v[11:14], v6 offset:544
	ds_read_b128 v[46:49], v6 offset:1568
	v_mul_f32_e32 v7, v5, v0
	v_mul_f32_e32 v15, v5, v1
	s_waitcnt lgkmcnt(0)
	v_fma_f32 v4, v50, v46, v21
	v_mov_b32_e32 v46, v17
	v_mul_f32_e32 v17, v5, v3
	v_fmac_f32_e32 v10, v11, v4
	v_fma_f32 v4, v51, v47, v20
	v_mov_b32_e32 v47, v16
	v_mul_f32_e32 v16, v5, v2
	v_fmac_f32_e32 v10, v12, v4
	v_fma_f32 v4, v52, v48, v19
	v_fmac_f32_e32 v10, v13, v4
	v_fma_f32 v4, v53, v49, v18
	v_fmac_f32_e32 v10, v14, v4
	ds_read_b128 v[11:14], v6 offset:1056
	s_waitcnt lgkmcnt(0)
	v_fmac_f32_e32 v50, v21, v11
	v_fmac_f32_e32 v51, v20, v12
	;; [unrolled: 1-line block ×4, first 2 shown]
	ds_read_b128 v[0:3], v6 offset:560
	ds_read_b128 v[11:14], v6 offset:1584
	s_waitcnt lgkmcnt(0)
	v_fma_f32 v4, v7, v11, v28
	v_fmac_f32_e32 v10, v0, v4
	v_fma_f32 v0, v15, v12, v29
	v_fmac_f32_e32 v10, v1, v0
	v_fma_f32 v0, v16, v13, v27
	v_fmac_f32_e32 v10, v2, v0
	v_fma_f32 v0, v17, v14, v26
	v_fmac_f32_e32 v10, v3, v0
	ds_read_b128 v[0:3], v6 offset:1072
	s_waitcnt lgkmcnt(0)
	v_fmac_f32_e32 v7, v28, v0
	v_fmac_f32_e32 v15, v29, v1
	v_fmac_f32_e32 v16, v27, v2
	v_fmac_f32_e32 v17, v26, v3
	ds_read_b128 v[0:3], v6 offset:64
	v_mov_b32_e32 v28, v7
	v_mov_b32_e32 v29, v15
	v_mov_b32_e32 v27, v16
	v_mov_b32_e32 v26, v17
	s_waitcnt lgkmcnt(0)
	v_mul_f32_e32 v7, v5, v0
	v_mul_f32_e32 v15, v5, v1
	v_mul_f32_e32 v16, v5, v2
	v_mul_f32_e32 v17, v5, v3
	ds_read_b128 v[0:3], v6 offset:576
	ds_read_b128 v[11:14], v6 offset:1600
	s_waitcnt lgkmcnt(0)
	v_fma_f32 v4, v7, v11, v23
	v_fmac_f32_e32 v10, v0, v4
	v_fma_f32 v0, v15, v12, v25
	v_fmac_f32_e32 v10, v1, v0
	v_fma_f32 v0, v16, v13, v22
	v_fmac_f32_e32 v10, v2, v0
	v_fma_f32 v0, v17, v14, v24
	v_fmac_f32_e32 v10, v3, v0
	ds_read_b128 v[0:3], v6 offset:1088
	s_waitcnt lgkmcnt(0)
	v_fmac_f32_e32 v7, v23, v0
	v_fmac_f32_e32 v15, v25, v1
	v_fmac_f32_e32 v16, v22, v2
	v_fmac_f32_e32 v17, v24, v3
	ds_read_b128 v[0:3], v6 offset:80
	v_mov_b32_e32 v23, v7
	v_mov_b32_e32 v25, v15
	v_mov_b32_e32 v22, v16
	v_mov_b32_e32 v24, v17
	s_waitcnt lgkmcnt(0)
	v_mul_f32_e32 v7, v5, v0
	v_mul_f32_e32 v16, v5, v1
	v_mul_f32_e32 v15, v5, v2
	v_mul_f32_e32 v17, v5, v3
	ds_read_b128 v[0:3], v6 offset:592
	ds_read_b128 v[11:14], v6 offset:1616
	s_waitcnt lgkmcnt(0)
	v_fma_f32 v4, v7, v11, v30
	v_fmac_f32_e32 v10, v0, v4
	v_fma_f32 v0, v16, v12, v32
	v_fmac_f32_e32 v10, v1, v0
	v_fma_f32 v0, v15, v13, v31
	v_fmac_f32_e32 v10, v2, v0
	v_fma_f32 v0, v17, v14, v33
	v_fmac_f32_e32 v10, v3, v0
	ds_read_b128 v[0:3], v6 offset:1104
	s_waitcnt lgkmcnt(0)
	v_fmac_f32_e32 v7, v30, v0
	v_fmac_f32_e32 v16, v32, v1
	v_fmac_f32_e32 v15, v31, v2
	v_fmac_f32_e32 v17, v33, v3
	ds_read_b128 v[0:3], v6 offset:96
	v_mov_b32_e32 v30, v7
	v_mov_b32_e32 v32, v16
	v_mov_b32_e32 v31, v15
	v_mov_b32_e32 v33, v17
	s_waitcnt lgkmcnt(0)
	v_mul_f32_e32 v16, v5, v0
	v_mul_f32_e32 v7, v5, v1
	v_mul_f32_e32 v17, v5, v2
	v_mul_f32_e32 v15, v5, v3
	ds_read_b128 v[0:3], v6 offset:608
	ds_read_b128 v[11:14], v6 offset:1632
	s_waitcnt lgkmcnt(0)
	v_fma_f32 v4, v16, v11, v36
	v_fmac_f32_e32 v10, v0, v4
	v_fma_f32 v0, v7, v12, v34
	v_fmac_f32_e32 v10, v1, v0
	v_fma_f32 v0, v17, v13, v37
	v_fmac_f32_e32 v10, v2, v0
	v_fma_f32 v0, v15, v14, v35
	v_fmac_f32_e32 v10, v3, v0
	ds_read_b128 v[0:3], v6 offset:1120
	s_waitcnt lgkmcnt(0)
	v_fmac_f32_e32 v16, v36, v0
	v_fmac_f32_e32 v7, v34, v1
	v_fmac_f32_e32 v17, v37, v2
	v_fmac_f32_e32 v15, v35, v3
	ds_read_b128 v[0:3], v6 offset:112
	v_mov_b32_e32 v36, v16
	v_mov_b32_e32 v34, v7
	v_mov_b32_e32 v37, v17
	v_mov_b32_e32 v35, v15
	s_waitcnt lgkmcnt(0)
	v_mul_f32_e32 v16, v5, v0
	v_mul_f32_e32 v17, v5, v1
	v_mul_f32_e32 v15, v5, v2
	v_mul_f32_e32 v7, v5, v3
	ds_read_b128 v[0:3], v6 offset:624
	ds_read_b128 v[11:14], v6 offset:1648
	buffer_load_dword v18, off, s[28:31], 0 offset:44 ; 4-byte Folded Reload
	s_waitcnt lgkmcnt(0)
	v_fma_f32 v4, v16, v11, v40
	buffer_load_dword v11, off, s[28:31], 0 offset:40 ; 4-byte Folded Reload
	v_fmac_f32_e32 v10, v0, v4
	buffer_load_dword v4, off, s[28:31], 0 offset:36 ; 4-byte Folded Reload
	s_waitcnt vmcnt(2)
	v_fma_f32 v0, v17, v12, v18
	v_fmac_f32_e32 v10, v1, v0
	s_waitcnt vmcnt(1)
	v_fma_f32 v0, v15, v13, v11
	v_fmac_f32_e32 v10, v2, v0
	;; [unrolled: 3-line block ×3, first 2 shown]
	ds_read_b128 v[0:3], v6 offset:1136
	s_waitcnt lgkmcnt(0)
	v_fmac_f32_e32 v16, v40, v0
	v_fmac_f32_e32 v17, v18, v1
	;; [unrolled: 1-line block ×4, first 2 shown]
	ds_read_b128 v[0:3], v6 offset:128
	v_mov_b32_e32 v40, v16
	buffer_store_dword v17, off, s[28:31], 0 offset:44 ; 4-byte Folded Spill
	buffer_store_dword v15, off, s[28:31], 0 offset:40 ; 4-byte Folded Spill
	;; [unrolled: 1-line block ×3, first 2 shown]
	s_waitcnt lgkmcnt(0)
	v_mul_f32_e32 v17, v5, v0
	v_mul_f32_e32 v16, v5, v1
	;; [unrolled: 1-line block ×4, first 2 shown]
	ds_read_b128 v[0:3], v6 offset:640
	ds_read_b128 v[11:14], v6 offset:1664
	s_clause 0x1
	buffer_load_dword v19, off, s[28:31], 0 offset:32
	buffer_load_dword v18, off, s[28:31], 0 offset:28
	s_waitcnt vmcnt(1) lgkmcnt(0)
	v_fma_f32 v4, v17, v11, v19
	buffer_load_dword v11, off, s[28:31], 0 offset:24 ; 4-byte Folded Reload
	v_fmac_f32_e32 v10, v0, v4
	buffer_load_dword v4, off, s[28:31], 0 offset:20 ; 4-byte Folded Reload
	s_waitcnt vmcnt(2)
	v_fma_f32 v0, v16, v12, v18
	v_fmac_f32_e32 v10, v1, v0
	s_waitcnt vmcnt(1)
	v_fma_f32 v0, v15, v13, v11
	v_fmac_f32_e32 v10, v2, v0
	;; [unrolled: 3-line block ×3, first 2 shown]
	ds_read_b128 v[0:3], v6 offset:1152
	s_waitcnt lgkmcnt(0)
	v_fmac_f32_e32 v17, v19, v0
	v_fmac_f32_e32 v16, v18, v1
	;; [unrolled: 1-line block ×4, first 2 shown]
	ds_read_b128 v[0:3], v6 offset:144
	buffer_store_dword v17, off, s[28:31], 0 offset:32 ; 4-byte Folded Spill
	buffer_store_dword v16, off, s[28:31], 0 offset:28 ; 4-byte Folded Spill
	;; [unrolled: 1-line block ×4, first 2 shown]
	s_waitcnt lgkmcnt(0)
	v_mul_f32_e32 v56, v5, v0
	v_mul_f32_e32 v55, v5, v1
	v_mul_f32_e32 v54, v5, v2
	v_mul_f32_e32 v49, v5, v3
	ds_read_b128 v[0:3], v6 offset:656
	ds_read_b128 v[11:14], v6 offset:1680
	s_clause 0x1
	buffer_load_dword v15, off, s[28:31], 0 offset:424
	buffer_load_dword v7, off, s[28:31], 0 offset:416
	s_waitcnt vmcnt(1) lgkmcnt(0)
	v_fma_f32 v4, v56, v11, v15
	buffer_load_dword v11, off, s[28:31], 0 offset:420 ; 4-byte Folded Reload
	v_fmac_f32_e32 v10, v0, v4
	buffer_load_dword v4, off, s[28:31], 0 offset:412 ; 4-byte Folded Reload
	s_waitcnt vmcnt(1)
	v_fma_f32 v0, v55, v12, v11
	v_fmac_f32_e32 v10, v1, v0
	v_fma_f32 v0, v54, v13, v7
	v_fmac_f32_e32 v10, v2, v0
	s_waitcnt vmcnt(0)
	v_fma_f32 v0, v49, v14, v4
	v_fmac_f32_e32 v10, v3, v0
	ds_read_b128 v[0:3], v6 offset:1168
	s_waitcnt lgkmcnt(0)
	v_fmac_f32_e32 v56, v15, v0
	v_fmac_f32_e32 v55, v11, v1
	v_fmac_f32_e32 v54, v7, v2
	v_fmac_f32_e32 v49, v4, v3
	ds_read_b128 v[0:3], v6 offset:160
	s_waitcnt lgkmcnt(0)
	v_mul_f32_e32 v44, v5, v0
	v_mul_f32_e32 v43, v5, v1
	v_mul_f32_e32 v42, v5, v2
	v_mul_f32_e32 v57, v5, v3
	ds_read_b128 v[0:3], v6 offset:672
	ds_read_b128 v[11:14], v6 offset:1696
	s_clause 0x1
	buffer_load_dword v15, off, s[28:31], 0 offset:408
	buffer_load_dword v7, off, s[28:31], 0 offset:400
	s_waitcnt vmcnt(1) lgkmcnt(0)
	v_fma_f32 v4, v44, v11, v15
	buffer_load_dword v11, off, s[28:31], 0 offset:404 ; 4-byte Folded Reload
	v_fmac_f32_e32 v10, v0, v4
	buffer_load_dword v4, off, s[28:31], 0 offset:396 ; 4-byte Folded Reload
	s_waitcnt vmcnt(1)
	v_fma_f32 v0, v43, v12, v11
	v_fmac_f32_e32 v10, v1, v0
	v_fma_f32 v0, v42, v13, v7
	v_fmac_f32_e32 v10, v2, v0
	s_waitcnt vmcnt(0)
	v_fma_f32 v0, v57, v14, v4
	v_fmac_f32_e32 v10, v3, v0
	ds_read_b128 v[0:3], v6 offset:1184
	s_waitcnt lgkmcnt(0)
	v_fmac_f32_e32 v44, v15, v0
	v_fmac_f32_e32 v43, v11, v1
	v_fmac_f32_e32 v42, v7, v2
	v_fmac_f32_e32 v57, v4, v3
	ds_read_b128 v[0:3], v6 offset:176
	s_waitcnt lgkmcnt(0)
	v_mul_f32_e32 v60, v5, v0
	v_mul_f32_e32 v59, v5, v1
	v_mul_f32_e32 v58, v5, v2
	v_mul_f32_e32 v45, v5, v3
	ds_read_b128 v[0:3], v6 offset:688
	ds_read_b128 v[11:14], v6 offset:1712
	s_clause 0x1
	buffer_load_dword v15, off, s[28:31], 0 offset:392
	buffer_load_dword v7, off, s[28:31], 0 offset:384
	s_waitcnt vmcnt(1) lgkmcnt(0)
	v_fma_f32 v4, v60, v11, v15
	buffer_load_dword v11, off, s[28:31], 0 offset:388 ; 4-byte Folded Reload
	v_fmac_f32_e32 v10, v0, v4
	buffer_load_dword v4, off, s[28:31], 0 offset:380 ; 4-byte Folded Reload
	s_waitcnt vmcnt(1)
	v_fma_f32 v0, v59, v12, v11
	v_fmac_f32_e32 v10, v1, v0
	v_fma_f32 v0, v58, v13, v7
	v_fmac_f32_e32 v10, v2, v0
	s_waitcnt vmcnt(0)
	v_fma_f32 v0, v45, v14, v4
	v_fmac_f32_e32 v10, v3, v0
	ds_read_b128 v[0:3], v6 offset:1200
	s_waitcnt lgkmcnt(0)
	v_fmac_f32_e32 v60, v15, v0
	v_fmac_f32_e32 v59, v11, v1
	v_fmac_f32_e32 v58, v7, v2
	v_fmac_f32_e32 v45, v4, v3
	ds_read_b128 v[0:3], v6 offset:192
	s_waitcnt lgkmcnt(0)
	v_mul_f32_e32 v41, v5, v0
	v_mul_f32_e32 v39, v5, v1
	v_mul_f32_e32 v38, v5, v2
	v_mul_f32_e32 v61, v5, v3
	ds_read_b128 v[0:3], v6 offset:704
	ds_read_b128 v[11:14], v6 offset:1728
	s_clause 0x1
	buffer_load_dword v15, off, s[28:31], 0 offset:376
	buffer_load_dword v7, off, s[28:31], 0 offset:368
	s_waitcnt vmcnt(1) lgkmcnt(0)
	v_fma_f32 v4, v41, v11, v15
	buffer_load_dword v11, off, s[28:31], 0 offset:372 ; 4-byte Folded Reload
	v_fmac_f32_e32 v10, v0, v4
	buffer_load_dword v4, off, s[28:31], 0 offset:364 ; 4-byte Folded Reload
	s_waitcnt vmcnt(1)
	v_fma_f32 v0, v39, v12, v11
	v_fmac_f32_e32 v10, v1, v0
	v_fma_f32 v0, v38, v13, v7
	v_fmac_f32_e32 v10, v2, v0
	s_waitcnt vmcnt(0)
	v_fma_f32 v0, v61, v14, v4
	v_fmac_f32_e32 v10, v3, v0
	ds_read_b128 v[0:3], v6 offset:1216
	s_waitcnt lgkmcnt(0)
	v_fmac_f32_e32 v41, v15, v0
	v_fmac_f32_e32 v39, v11, v1
	v_fmac_f32_e32 v38, v7, v2
	v_fmac_f32_e32 v61, v4, v3
	ds_read_b128 v[0:3], v6 offset:208
	s_waitcnt lgkmcnt(0)
	v_mul_f32_e32 v65, v5, v0
	v_mul_f32_e32 v64, v5, v1
	v_mul_f32_e32 v63, v5, v2
	v_mul_f32_e32 v62, v5, v3
	ds_read_b128 v[0:3], v6 offset:720
	ds_read_b128 v[11:14], v6 offset:1744
	s_clause 0x1
	buffer_load_dword v15, off, s[28:31], 0 offset:360
	buffer_load_dword v7, off, s[28:31], 0 offset:352
	s_waitcnt vmcnt(1) lgkmcnt(0)
	v_fma_f32 v4, v65, v11, v15
	buffer_load_dword v11, off, s[28:31], 0 offset:356 ; 4-byte Folded Reload
	v_fmac_f32_e32 v10, v0, v4
	buffer_load_dword v4, off, s[28:31], 0 offset:348 ; 4-byte Folded Reload
	s_waitcnt vmcnt(1)
	v_fma_f32 v0, v64, v12, v11
	v_fmac_f32_e32 v10, v1, v0
	v_fma_f32 v0, v63, v13, v7
	v_fmac_f32_e32 v10, v2, v0
	s_waitcnt vmcnt(0)
	v_fma_f32 v0, v62, v14, v4
	v_fmac_f32_e32 v10, v3, v0
	ds_read_b128 v[0:3], v6 offset:1232
	s_waitcnt lgkmcnt(0)
	v_fmac_f32_e32 v65, v15, v0
	v_fmac_f32_e32 v64, v11, v1
	v_fmac_f32_e32 v63, v7, v2
	v_fmac_f32_e32 v62, v4, v3
	ds_read_b128 v[0:3], v6 offset:224
	s_waitcnt lgkmcnt(0)
	v_mul_f32_e32 v69, v5, v0
	v_mul_f32_e32 v68, v5, v1
	v_mul_f32_e32 v67, v5, v2
	v_mul_f32_e32 v66, v5, v3
	ds_read_b128 v[0:3], v6 offset:736
	ds_read_b128 v[11:14], v6 offset:1760
	s_clause 0x1
	buffer_load_dword v15, off, s[28:31], 0 offset:344
	buffer_load_dword v7, off, s[28:31], 0 offset:336
	s_waitcnt vmcnt(1) lgkmcnt(0)
	v_fma_f32 v4, v69, v11, v15
	buffer_load_dword v11, off, s[28:31], 0 offset:340 ; 4-byte Folded Reload
	v_fmac_f32_e32 v10, v0, v4
	buffer_load_dword v4, off, s[28:31], 0 offset:332 ; 4-byte Folded Reload
	s_waitcnt vmcnt(1)
	v_fma_f32 v0, v68, v12, v11
	v_fmac_f32_e32 v10, v1, v0
	v_fma_f32 v0, v67, v13, v7
	v_fmac_f32_e32 v10, v2, v0
	s_waitcnt vmcnt(0)
	v_fma_f32 v0, v66, v14, v4
	v_fmac_f32_e32 v10, v3, v0
	ds_read_b128 v[0:3], v6 offset:1248
	s_waitcnt lgkmcnt(0)
	v_fmac_f32_e32 v69, v15, v0
	v_fmac_f32_e32 v68, v11, v1
	v_fmac_f32_e32 v67, v7, v2
	v_fmac_f32_e32 v66, v4, v3
	ds_read_b128 v[0:3], v6 offset:240
	s_waitcnt lgkmcnt(0)
	v_mul_f32_e32 v73, v5, v0
	v_mul_f32_e32 v72, v5, v1
	v_mul_f32_e32 v71, v5, v2
	v_mul_f32_e32 v70, v5, v3
	ds_read_b128 v[0:3], v6 offset:752
	ds_read_b128 v[11:14], v6 offset:1776
	s_clause 0x1
	buffer_load_dword v15, off, s[28:31], 0 offset:328
	buffer_load_dword v7, off, s[28:31], 0 offset:320
	s_waitcnt vmcnt(1) lgkmcnt(0)
	v_fma_f32 v4, v73, v11, v15
	buffer_load_dword v11, off, s[28:31], 0 offset:324 ; 4-byte Folded Reload
	v_fmac_f32_e32 v10, v0, v4
	buffer_load_dword v4, off, s[28:31], 0 offset:316 ; 4-byte Folded Reload
	s_waitcnt vmcnt(1)
	v_fma_f32 v0, v72, v12, v11
	v_fmac_f32_e32 v10, v1, v0
	v_fma_f32 v0, v71, v13, v7
	v_fmac_f32_e32 v10, v2, v0
	s_waitcnt vmcnt(0)
	v_fma_f32 v0, v70, v14, v4
	v_fmac_f32_e32 v10, v3, v0
	ds_read_b128 v[0:3], v6 offset:1264
	s_waitcnt lgkmcnt(0)
	v_fmac_f32_e32 v73, v15, v0
	v_fmac_f32_e32 v72, v11, v1
	v_fmac_f32_e32 v71, v7, v2
	v_fmac_f32_e32 v70, v4, v3
	ds_read_b128 v[0:3], v6 offset:256
	s_waitcnt lgkmcnt(0)
	v_mul_f32_e32 v78, v5, v0
	v_mul_f32_e32 v77, v5, v1
	v_mul_f32_e32 v76, v5, v2
	v_mul_f32_e32 v75, v5, v3
	ds_read_b128 v[0:3], v6 offset:768
	ds_read_b128 v[11:14], v6 offset:1792
	s_clause 0x1
	buffer_load_dword v15, off, s[28:31], 0 offset:312
	buffer_load_dword v7, off, s[28:31], 0 offset:304
	s_waitcnt vmcnt(1) lgkmcnt(0)
	v_fma_f32 v4, v78, v11, v15
	buffer_load_dword v11, off, s[28:31], 0 offset:308 ; 4-byte Folded Reload
	v_fmac_f32_e32 v10, v0, v4
	buffer_load_dword v4, off, s[28:31], 0 offset:300 ; 4-byte Folded Reload
	s_waitcnt vmcnt(1)
	v_fma_f32 v0, v77, v12, v11
	v_fmac_f32_e32 v10, v1, v0
	v_fma_f32 v0, v76, v13, v7
	v_fmac_f32_e32 v10, v2, v0
	s_waitcnt vmcnt(0)
	v_fma_f32 v0, v75, v14, v4
	v_fmac_f32_e32 v10, v3, v0
	ds_read_b128 v[0:3], v6 offset:1280
	s_waitcnt lgkmcnt(0)
	v_fmac_f32_e32 v78, v15, v0
	v_fmac_f32_e32 v77, v11, v1
	v_fmac_f32_e32 v76, v7, v2
	v_fmac_f32_e32 v75, v4, v3
	ds_read_b128 v[0:3], v6 offset:272
	s_waitcnt lgkmcnt(0)
	v_mul_f32_e32 v82, v5, v0
	v_mul_f32_e32 v81, v5, v1
	v_mul_f32_e32 v80, v5, v2
	v_mul_f32_e32 v79, v5, v3
	ds_read_b128 v[0:3], v6 offset:784
	ds_read_b128 v[11:14], v6 offset:1808
	s_clause 0x1
	buffer_load_dword v15, off, s[28:31], 0 offset:296
	buffer_load_dword v7, off, s[28:31], 0 offset:288
	s_waitcnt vmcnt(1) lgkmcnt(0)
	v_fma_f32 v4, v82, v11, v15
	buffer_load_dword v11, off, s[28:31], 0 offset:292 ; 4-byte Folded Reload
	v_fmac_f32_e32 v10, v0, v4
	buffer_load_dword v4, off, s[28:31], 0 offset:284 ; 4-byte Folded Reload
	s_waitcnt vmcnt(1)
	v_fma_f32 v0, v81, v12, v11
	v_fmac_f32_e32 v10, v1, v0
	v_fma_f32 v0, v80, v13, v7
	v_fmac_f32_e32 v10, v2, v0
	s_waitcnt vmcnt(0)
	v_fma_f32 v0, v79, v14, v4
	v_fmac_f32_e32 v10, v3, v0
	ds_read_b128 v[0:3], v6 offset:1296
	s_waitcnt lgkmcnt(0)
	v_fmac_f32_e32 v82, v15, v0
	v_fmac_f32_e32 v81, v11, v1
	v_fmac_f32_e32 v80, v7, v2
	v_fmac_f32_e32 v79, v4, v3
	ds_read_b128 v[0:3], v6 offset:288
	s_waitcnt lgkmcnt(0)
	v_mul_f32_e32 v86, v5, v0
	v_mul_f32_e32 v85, v5, v1
	v_mul_f32_e32 v84, v5, v2
	v_mul_f32_e32 v83, v5, v3
	ds_read_b128 v[0:3], v6 offset:800
	ds_read_b128 v[11:14], v6 offset:1824
	s_clause 0x1
	buffer_load_dword v15, off, s[28:31], 0 offset:280
	buffer_load_dword v7, off, s[28:31], 0 offset:272
	s_waitcnt vmcnt(1) lgkmcnt(0)
	v_fma_f32 v4, v86, v11, v15
	buffer_load_dword v11, off, s[28:31], 0 offset:276 ; 4-byte Folded Reload
	v_fmac_f32_e32 v10, v0, v4
	buffer_load_dword v4, off, s[28:31], 0 offset:268 ; 4-byte Folded Reload
	s_waitcnt vmcnt(1)
	v_fma_f32 v0, v85, v12, v11
	v_fmac_f32_e32 v10, v1, v0
	v_fma_f32 v0, v84, v13, v7
	v_fmac_f32_e32 v10, v2, v0
	s_waitcnt vmcnt(0)
	v_fma_f32 v0, v83, v14, v4
	v_fmac_f32_e32 v10, v3, v0
	ds_read_b128 v[0:3], v6 offset:1312
	s_waitcnt lgkmcnt(0)
	v_fmac_f32_e32 v86, v15, v0
	v_fmac_f32_e32 v85, v11, v1
	v_fmac_f32_e32 v84, v7, v2
	v_fmac_f32_e32 v83, v4, v3
	ds_read_b128 v[0:3], v6 offset:304
	s_waitcnt lgkmcnt(0)
	v_mul_f32_e32 v90, v5, v0
	v_mul_f32_e32 v89, v5, v1
	v_mul_f32_e32 v88, v5, v2
	v_mul_f32_e32 v87, v5, v3
	ds_read_b128 v[0:3], v6 offset:816
	ds_read_b128 v[11:14], v6 offset:1840
	s_clause 0x1
	buffer_load_dword v15, off, s[28:31], 0 offset:264
	buffer_load_dword v7, off, s[28:31], 0 offset:256
	s_waitcnt vmcnt(1) lgkmcnt(0)
	v_fma_f32 v4, v90, v11, v15
	buffer_load_dword v11, off, s[28:31], 0 offset:260 ; 4-byte Folded Reload
	v_fmac_f32_e32 v10, v0, v4
	buffer_load_dword v4, off, s[28:31], 0 offset:252 ; 4-byte Folded Reload
	s_waitcnt vmcnt(1)
	v_fma_f32 v0, v89, v12, v11
	v_fmac_f32_e32 v10, v1, v0
	v_fma_f32 v0, v88, v13, v7
	v_fmac_f32_e32 v10, v2, v0
	s_waitcnt vmcnt(0)
	v_fma_f32 v0, v87, v14, v4
	v_fmac_f32_e32 v10, v3, v0
	ds_read_b128 v[0:3], v6 offset:1328
	s_waitcnt lgkmcnt(0)
	v_fmac_f32_e32 v90, v15, v0
	v_fmac_f32_e32 v89, v11, v1
	v_fmac_f32_e32 v88, v7, v2
	v_fmac_f32_e32 v87, v4, v3
	ds_read_b128 v[0:3], v6 offset:320
	s_waitcnt lgkmcnt(0)
	v_mul_f32_e32 v94, v5, v0
	v_mul_f32_e32 v93, v5, v1
	v_mul_f32_e32 v92, v5, v2
	v_mul_f32_e32 v91, v5, v3
	ds_read_b128 v[0:3], v6 offset:832
	ds_read_b128 v[11:14], v6 offset:1856
	s_clause 0x1
	buffer_load_dword v15, off, s[28:31], 0 offset:248
	buffer_load_dword v7, off, s[28:31], 0 offset:240
	s_waitcnt vmcnt(1) lgkmcnt(0)
	v_fma_f32 v4, v94, v11, v15
	buffer_load_dword v11, off, s[28:31], 0 offset:244 ; 4-byte Folded Reload
	v_fmac_f32_e32 v10, v0, v4
	buffer_load_dword v4, off, s[28:31], 0 offset:236 ; 4-byte Folded Reload
	s_waitcnt vmcnt(1)
	v_fma_f32 v0, v93, v12, v11
	v_fmac_f32_e32 v10, v1, v0
	v_fma_f32 v0, v92, v13, v7
	v_fmac_f32_e32 v10, v2, v0
	s_waitcnt vmcnt(0)
	v_fma_f32 v0, v91, v14, v4
	v_fmac_f32_e32 v10, v3, v0
	ds_read_b128 v[0:3], v6 offset:1344
	s_waitcnt lgkmcnt(0)
	v_fmac_f32_e32 v94, v15, v0
	v_fmac_f32_e32 v93, v11, v1
	v_fmac_f32_e32 v92, v7, v2
	v_fmac_f32_e32 v91, v4, v3
	ds_read_b128 v[0:3], v6 offset:336
	s_waitcnt lgkmcnt(0)
	v_mul_f32_e32 v98, v5, v0
	v_mul_f32_e32 v97, v5, v1
	v_mul_f32_e32 v96, v5, v2
	v_mul_f32_e32 v95, v5, v3
	ds_read_b128 v[0:3], v6 offset:848
	ds_read_b128 v[11:14], v6 offset:1872
	s_clause 0x1
	buffer_load_dword v15, off, s[28:31], 0 offset:232
	buffer_load_dword v7, off, s[28:31], 0 offset:224
	s_waitcnt vmcnt(1) lgkmcnt(0)
	v_fma_f32 v4, v98, v11, v15
	buffer_load_dword v11, off, s[28:31], 0 offset:228 ; 4-byte Folded Reload
	v_fmac_f32_e32 v10, v0, v4
	buffer_load_dword v4, off, s[28:31], 0 offset:220 ; 4-byte Folded Reload
	s_waitcnt vmcnt(1)
	v_fma_f32 v0, v97, v12, v11
	v_fmac_f32_e32 v10, v1, v0
	v_fma_f32 v0, v96, v13, v7
	v_fmac_f32_e32 v10, v2, v0
	s_waitcnt vmcnt(0)
	v_fma_f32 v0, v95, v14, v4
	v_fmac_f32_e32 v10, v3, v0
	ds_read_b128 v[0:3], v6 offset:1360
	s_waitcnt lgkmcnt(0)
	v_fmac_f32_e32 v98, v15, v0
	v_fmac_f32_e32 v97, v11, v1
	v_fmac_f32_e32 v96, v7, v2
	v_fmac_f32_e32 v95, v4, v3
	ds_read_b128 v[0:3], v6 offset:352
	s_waitcnt lgkmcnt(0)
	v_mul_f32_e32 v102, v5, v0
	v_mul_f32_e32 v101, v5, v1
	v_mul_f32_e32 v100, v5, v2
	v_mul_f32_e32 v99, v5, v3
	ds_read_b128 v[0:3], v6 offset:864
	ds_read_b128 v[11:14], v6 offset:1888
	s_clause 0x1
	buffer_load_dword v15, off, s[28:31], 0 offset:216
	buffer_load_dword v7, off, s[28:31], 0 offset:208
	s_waitcnt vmcnt(1) lgkmcnt(0)
	v_fma_f32 v4, v102, v11, v15
	buffer_load_dword v11, off, s[28:31], 0 offset:212 ; 4-byte Folded Reload
	v_fmac_f32_e32 v10, v0, v4
	buffer_load_dword v4, off, s[28:31], 0 offset:204 ; 4-byte Folded Reload
	s_waitcnt vmcnt(1)
	v_fma_f32 v0, v101, v12, v11
	v_fmac_f32_e32 v10, v1, v0
	v_fma_f32 v0, v100, v13, v7
	v_fmac_f32_e32 v10, v2, v0
	s_waitcnt vmcnt(0)
	v_fma_f32 v0, v99, v14, v4
	v_fmac_f32_e32 v10, v3, v0
	ds_read_b128 v[0:3], v6 offset:1376
	s_waitcnt lgkmcnt(0)
	v_fmac_f32_e32 v102, v15, v0
	v_fmac_f32_e32 v101, v11, v1
	v_fmac_f32_e32 v100, v7, v2
	v_fmac_f32_e32 v99, v4, v3
	ds_read_b128 v[0:3], v6 offset:368
	s_waitcnt lgkmcnt(0)
	v_mul_f32_e32 v106, v5, v0
	v_mul_f32_e32 v105, v5, v1
	v_mul_f32_e32 v104, v5, v2
	v_mul_f32_e32 v103, v5, v3
	ds_read_b128 v[0:3], v6 offset:880
	ds_read_b128 v[11:14], v6 offset:1904
	s_clause 0x1
	buffer_load_dword v15, off, s[28:31], 0 offset:200
	buffer_load_dword v7, off, s[28:31], 0 offset:192
	s_waitcnt vmcnt(1) lgkmcnt(0)
	v_fma_f32 v4, v106, v11, v15
	buffer_load_dword v11, off, s[28:31], 0 offset:196 ; 4-byte Folded Reload
	v_fmac_f32_e32 v10, v0, v4
	buffer_load_dword v4, off, s[28:31], 0 offset:188 ; 4-byte Folded Reload
	s_waitcnt vmcnt(1)
	v_fma_f32 v0, v105, v12, v11
	v_fmac_f32_e32 v10, v1, v0
	v_fma_f32 v0, v104, v13, v7
	v_fmac_f32_e32 v10, v2, v0
	s_waitcnt vmcnt(0)
	v_fma_f32 v0, v103, v14, v4
	v_fmac_f32_e32 v10, v3, v0
	ds_read_b128 v[0:3], v6 offset:1392
	s_waitcnt lgkmcnt(0)
	v_fmac_f32_e32 v106, v15, v0
	v_fmac_f32_e32 v105, v11, v1
	v_fmac_f32_e32 v104, v7, v2
	v_fmac_f32_e32 v103, v4, v3
	ds_read_b128 v[0:3], v6 offset:384
	s_waitcnt lgkmcnt(0)
	v_mul_f32_e32 v110, v5, v0
	v_mul_f32_e32 v109, v5, v1
	v_mul_f32_e32 v108, v5, v2
	v_mul_f32_e32 v107, v5, v3
	ds_read_b128 v[0:3], v6 offset:896
	ds_read_b128 v[11:14], v6 offset:1920
	s_clause 0x1
	buffer_load_dword v15, off, s[28:31], 0 offset:184
	buffer_load_dword v7, off, s[28:31], 0 offset:176
	s_waitcnt vmcnt(1) lgkmcnt(0)
	v_fma_f32 v4, v110, v11, v15
	buffer_load_dword v11, off, s[28:31], 0 offset:180 ; 4-byte Folded Reload
	v_fmac_f32_e32 v10, v0, v4
	buffer_load_dword v4, off, s[28:31], 0 offset:172 ; 4-byte Folded Reload
	s_waitcnt vmcnt(1)
	v_fma_f32 v0, v109, v12, v11
	v_fmac_f32_e32 v10, v1, v0
	v_fma_f32 v0, v108, v13, v7
	v_fmac_f32_e32 v10, v2, v0
	s_waitcnt vmcnt(0)
	v_fma_f32 v0, v107, v14, v4
	v_fmac_f32_e32 v10, v3, v0
	ds_read_b128 v[0:3], v6 offset:1408
	s_waitcnt lgkmcnt(0)
	v_fmac_f32_e32 v110, v15, v0
	v_fmac_f32_e32 v109, v11, v1
	v_fmac_f32_e32 v108, v7, v2
	v_fmac_f32_e32 v107, v4, v3
	ds_read_b128 v[0:3], v6 offset:400
	s_waitcnt lgkmcnt(0)
	v_mul_f32_e32 v114, v5, v0
	v_mul_f32_e32 v113, v5, v1
	v_mul_f32_e32 v112, v5, v2
	v_mul_f32_e32 v111, v5, v3
	ds_read_b128 v[0:3], v6 offset:912
	ds_read_b128 v[11:14], v6 offset:1936
	s_clause 0x1
	buffer_load_dword v15, off, s[28:31], 0 offset:168
	buffer_load_dword v7, off, s[28:31], 0 offset:160
	s_waitcnt vmcnt(1) lgkmcnt(0)
	v_fma_f32 v4, v114, v11, v15
	buffer_load_dword v11, off, s[28:31], 0 offset:164 ; 4-byte Folded Reload
	v_fmac_f32_e32 v10, v0, v4
	buffer_load_dword v4, off, s[28:31], 0 offset:156 ; 4-byte Folded Reload
	s_waitcnt vmcnt(1)
	v_fma_f32 v0, v113, v12, v11
	v_fmac_f32_e32 v10, v1, v0
	v_fma_f32 v0, v112, v13, v7
	v_fmac_f32_e32 v10, v2, v0
	s_waitcnt vmcnt(0)
	v_fma_f32 v0, v111, v14, v4
	v_fmac_f32_e32 v10, v3, v0
	ds_read_b128 v[0:3], v6 offset:1424
	s_waitcnt lgkmcnt(0)
	v_fmac_f32_e32 v114, v15, v0
	v_fmac_f32_e32 v113, v11, v1
	v_fmac_f32_e32 v112, v7, v2
	v_fmac_f32_e32 v111, v4, v3
	ds_read_b128 v[0:3], v6 offset:416
	s_waitcnt lgkmcnt(0)
	v_mul_f32_e32 v118, v5, v0
	v_mul_f32_e32 v117, v5, v1
	v_mul_f32_e32 v116, v5, v2
	v_mul_f32_e32 v115, v5, v3
	ds_read_b128 v[0:3], v6 offset:928
	ds_read_b128 v[11:14], v6 offset:1952
	s_clause 0x1
	buffer_load_dword v15, off, s[28:31], 0 offset:152
	buffer_load_dword v7, off, s[28:31], 0 offset:144
	s_waitcnt vmcnt(1) lgkmcnt(0)
	v_fma_f32 v4, v118, v11, v15
	buffer_load_dword v11, off, s[28:31], 0 offset:148 ; 4-byte Folded Reload
	v_fmac_f32_e32 v10, v0, v4
	buffer_load_dword v4, off, s[28:31], 0 offset:140 ; 4-byte Folded Reload
	s_waitcnt vmcnt(1)
	v_fma_f32 v0, v117, v12, v11
	v_fmac_f32_e32 v10, v1, v0
	v_fma_f32 v0, v116, v13, v7
	v_fmac_f32_e32 v10, v2, v0
	s_waitcnt vmcnt(0)
	v_fma_f32 v0, v115, v14, v4
	v_fmac_f32_e32 v10, v3, v0
	ds_read_b128 v[0:3], v6 offset:1440
	s_waitcnt lgkmcnt(0)
	v_fmac_f32_e32 v118, v15, v0
	v_fmac_f32_e32 v117, v11, v1
	v_fmac_f32_e32 v116, v7, v2
	v_fmac_f32_e32 v115, v4, v3
	ds_read_b128 v[0:3], v6 offset:432
	s_waitcnt lgkmcnt(0)
	v_mul_f32_e32 v122, v5, v0
	v_mul_f32_e32 v121, v5, v1
	v_mul_f32_e32 v120, v5, v2
	v_mul_f32_e32 v119, v5, v3
	ds_read_b128 v[0:3], v6 offset:944
	ds_read_b128 v[11:14], v6 offset:1968
	s_clause 0x1
	buffer_load_dword v15, off, s[28:31], 0 offset:136
	buffer_load_dword v7, off, s[28:31], 0 offset:128
	s_waitcnt vmcnt(1) lgkmcnt(0)
	v_fma_f32 v4, v122, v11, v15
	buffer_load_dword v11, off, s[28:31], 0 offset:132 ; 4-byte Folded Reload
	v_fmac_f32_e32 v10, v0, v4
	buffer_load_dword v4, off, s[28:31], 0 offset:124 ; 4-byte Folded Reload
	s_waitcnt vmcnt(1)
	v_fma_f32 v0, v121, v12, v11
	v_fmac_f32_e32 v10, v1, v0
	v_fma_f32 v0, v120, v13, v7
	v_fmac_f32_e32 v10, v2, v0
	s_waitcnt vmcnt(0)
	v_fma_f32 v0, v119, v14, v4
	v_fmac_f32_e32 v10, v3, v0
	ds_read_b128 v[0:3], v6 offset:1456
	s_waitcnt lgkmcnt(0)
	v_fmac_f32_e32 v122, v15, v0
	v_fmac_f32_e32 v121, v11, v1
	v_fmac_f32_e32 v120, v7, v2
	v_fmac_f32_e32 v119, v4, v3
	ds_read_b128 v[0:3], v6 offset:448
	s_waitcnt lgkmcnt(0)
	v_mul_f32_e32 v127, v5, v0
	v_mul_f32_e32 v126, v5, v1
	v_mul_f32_e32 v124, v5, v2
	v_mul_f32_e32 v123, v5, v3
	ds_read_b128 v[0:3], v6 offset:960
	ds_read_b128 v[11:14], v6 offset:1984
	s_clause 0x1
	buffer_load_dword v15, off, s[28:31], 0 offset:120
	buffer_load_dword v7, off, s[28:31], 0 offset:112
	s_waitcnt vmcnt(1) lgkmcnt(0)
	v_fma_f32 v4, v127, v11, v15
	buffer_load_dword v11, off, s[28:31], 0 offset:116 ; 4-byte Folded Reload
	v_fmac_f32_e32 v10, v0, v4
	buffer_load_dword v4, off, s[28:31], 0 offset:108 ; 4-byte Folded Reload
	s_waitcnt vmcnt(1)
	v_fma_f32 v0, v126, v12, v11
	v_fmac_f32_e32 v10, v1, v0
	v_fma_f32 v0, v124, v13, v7
	v_fmac_f32_e32 v10, v2, v0
	s_waitcnt vmcnt(0)
	v_fma_f32 v0, v123, v14, v4
	v_fmac_f32_e32 v10, v3, v0
	ds_read_b128 v[0:3], v6 offset:1472
	s_waitcnt lgkmcnt(0)
	v_fmac_f32_e32 v127, v15, v0
	v_fmac_f32_e32 v126, v11, v1
	v_fmac_f32_e32 v124, v7, v2
	v_fmac_f32_e32 v123, v4, v3
	ds_read_b128 v[0:3], v6 offset:464
	s_waitcnt lgkmcnt(0)
	v_mul_f32_e32 v4, v5, v0
	v_mul_f32_e32 v74, v5, v1
	;; [unrolled: 1-line block ×4, first 2 shown]
	ds_read_b128 v[0:3], v6 offset:976
	ds_read_b128 v[11:14], v6 offset:2000
	s_clause 0x1
	buffer_load_dword v16, off, s[28:31], 0 offset:104
	buffer_load_dword v15, off, s[28:31], 0 offset:100
	s_waitcnt vmcnt(1) lgkmcnt(0)
	v_fma_f32 v11, v4, v11, v16
	v_fmac_f32_e32 v10, v0, v11
	s_waitcnt vmcnt(0)
	v_fma_f32 v0, v74, v12, v15
	s_clause 0x1
	buffer_load_dword v12, off, s[28:31], 0 offset:96
	buffer_load_dword v11, off, s[28:31], 0 offset:92
	v_fmac_f32_e32 v10, v1, v0
	s_waitcnt vmcnt(1)
	v_fma_f32 v0, v7, v13, v12
	v_fmac_f32_e32 v10, v2, v0
	s_waitcnt vmcnt(0)
	v_fma_f32 v0, v125, v14, v11
	v_fmac_f32_e32 v10, v3, v0
	ds_read_b128 v[0:3], v6 offset:1488
	s_waitcnt lgkmcnt(0)
	v_fmac_f32_e32 v4, v16, v0
	v_fmac_f32_e32 v74, v15, v1
	v_fmac_f32_e32 v7, v12, v2
	v_fmac_f32_e32 v125, v11, v3
	ds_read_b128 v[0:3], v6 offset:480
	s_waitcnt lgkmcnt(0)
	v_mul_f32_e32 v16, v5, v0
	v_mul_f32_e32 v14, v5, v1
	;; [unrolled: 1-line block ×4, first 2 shown]
	ds_read_b128 v[0:3], v6 offset:992
	ds_read_b128 v[17:20], v6 offset:2016
	s_clause 0x1
	buffer_load_dword v21, off, s[28:31], 0 offset:88
	buffer_load_dword v15, off, s[28:31], 0 offset:80
	s_waitcnt vmcnt(1) lgkmcnt(0)
	v_fma_f32 v13, v16, v17, v21
	buffer_load_dword v17, off, s[28:31], 0 offset:84 ; 4-byte Folded Reload
	v_fmac_f32_e32 v10, v0, v13
	buffer_load_dword v13, off, s[28:31], 0 offset:76 ; 4-byte Folded Reload
	s_waitcnt vmcnt(1)
	v_fma_f32 v0, v14, v18, v17
	v_fmac_f32_e32 v10, v1, v0
	v_fma_f32 v0, v12, v19, v15
	v_fmac_f32_e32 v10, v2, v0
	s_waitcnt vmcnt(0)
	v_fma_f32 v0, v11, v20, v13
	v_fmac_f32_e32 v10, v3, v0
	ds_read_b128 v[0:3], v6 offset:1504
	s_waitcnt lgkmcnt(0)
	v_fmac_f32_e32 v16, v21, v0
	v_fmac_f32_e32 v14, v17, v1
	;; [unrolled: 1-line block ×4, first 2 shown]
	ds_read_b128 v[0:3], v6 offset:496
	s_waitcnt lgkmcnt(0)
	v_mul_f32_e32 v17, v5, v0
	v_mul_f32_e32 v15, v5, v1
	;; [unrolled: 1-line block ×4, first 2 shown]
	ds_read_b128 v[0:3], v6 offset:1008
	ds_read_b128 v[18:21], v6 offset:2032
	buffer_load_dword v48, off, s[28:31], 0 offset:72 ; 4-byte Folded Reload
	s_waitcnt vmcnt(0) lgkmcnt(0)
	v_fma_f32 v18, v17, v18, v48
	v_fmac_f32_e32 v10, v0, v18
	v_mov_b32_e32 v18, v53
	buffer_load_dword v53, off, s[28:31], 0 offset:68 ; 4-byte Folded Reload
	s_waitcnt vmcnt(0)
	v_fma_f32 v0, v15, v19, v53
	v_mov_b32_e32 v19, v52
	buffer_load_dword v52, off, s[28:31], 0 offset:64 ; 4-byte Folded Reload
	v_fmac_f32_e32 v10, v1, v0
	s_waitcnt vmcnt(0)
	v_fma_f32 v0, v13, v20, v52
	v_mov_b32_e32 v20, v51
	buffer_load_dword v51, off, s[28:31], 0 offset:60 ; 4-byte Folded Reload
	v_fmac_f32_e32 v10, v2, v0
	s_waitcnt vmcnt(0)
	v_fma_f32 v0, v5, v21, v51
	v_mov_b32_e32 v21, v50
	v_fmac_f32_e32 v10, v3, v0
	ds_read_b128 v[0:3], v6 offset:1520
	s_waitcnt lgkmcnt(0)
	v_fmac_f32_e32 v17, v48, v0
	v_add_co_u32 v0, vcc_lo, s12, v8
	v_fmac_f32_e32 v15, v53, v1
	v_add_co_ci_u32_e64 v1, null, s13, v9, vcc_lo
	v_fmac_f32_e32 v5, v51, v3
	buffer_load_dword v3, off, s[28:31], 0 offset:428 ; 4-byte Folded Reload
	v_add_co_u32 v8, vcc_lo, v8, s4
	global_store_dword v[0:1], v10, off
	s_clause 0x1
	buffer_load_dword v0, off, s[28:31], 0 offset:432
	buffer_load_dword v1, off, s[28:31], 0 offset:436
	v_mov_b32_e32 v10, v49
	s_clause 0x1
	buffer_load_dword v49, off, s[28:31], 0 offset:52
	buffer_load_dword v50, off, s[28:31], 0 offset:56
	v_add_co_ci_u32_e64 v9, null, s5, v9, vcc_lo
	v_fmac_f32_e32 v13, v52, v2
	s_waitcnt vmcnt(1)
	v_add_nc_u32_e32 v49, s2, v49
	v_cmp_ge_i32_e32 vcc_lo, v49, v0
	s_or_b32 s7, vcc_lo, s7
	s_andn2_b32 exec_lo, exec_lo, s7
	s_cbranch_execnz .LBB1_2
; %bb.3:
	s_or_b32 exec_lo, exec_lo, s7
	s_clause 0x1
	buffer_load_dword v8, off, s[28:31], 0 offset:440
	buffer_load_dword v9, off, s[28:31], 0 offset:444
                                        ; kill: def $vgpr8 killed $vgpr8 def $vgpr9
.LBB1_4:
	s_or_b32 exec_lo, exec_lo, s0
	buffer_load_dword v3, off, s[28:31], 0 offset:12 ; 4-byte Folded Reload
	s_waitcnt vmcnt(1)
	v_mad_u64_u32 v[0:1], null, s2, s1, v[8:9]
	v_ashrrev_i32_e32 v1, 31, v0
	v_lshlrev_b64 v[1:2], 2, v[0:1]
	v_add_co_u32 v1, vcc_lo, s12, v1
	v_add_co_ci_u32_e64 v2, null, s13, v2, vcc_lo
	s_waitcnt vmcnt(0)
	global_store_dword v[1:2], v3, off
	buffer_load_dword v3, off, s[28:31], 0 offset:8 ; 4-byte Folded Reload
	s_waitcnt vmcnt(0)
	global_store_dword v[1:2], v3, off offset:512
	buffer_load_dword v3, off, s[28:31], 0 offset:4 ; 4-byte Folded Reload
	s_waitcnt vmcnt(0)
	global_store_dword v[1:2], v3, off offset:1024
	buffer_load_dword v3, off, s[28:31], 0  ; 4-byte Folded Reload
	s_waitcnt vmcnt(0)
	global_store_dword v[1:2], v3, off offset:1536
	buffer_load_dword v3, off, s[28:31], 0 offset:16 ; 4-byte Folded Reload
	v_add_nc_u32_e32 v1, 0x200, v0
	v_ashrrev_i32_e32 v2, 31, v1
	v_lshlrev_b64 v[1:2], 2, v[1:2]
	v_add_co_u32 v1, vcc_lo, s12, v1
	v_add_co_ci_u32_e64 v2, null, s13, v2, vcc_lo
	s_waitcnt vmcnt(0)
	global_store_dword v[1:2], v3, off
	buffer_load_dword v3, off, s[28:31], 0 offset:48 ; 4-byte Folded Reload
	v_add_nc_u32_e32 v1, 0x280, v0
	v_ashrrev_i32_e32 v2, 31, v1
	v_lshlrev_b64 v[1:2], 2, v[1:2]
	v_add_co_u32 v1, vcc_lo, s12, v1
	v_add_co_ci_u32_e64 v2, null, s13, v2, vcc_lo
	s_waitcnt vmcnt(0)
	global_store_dword v[1:2], v3, off
	v_add_nc_u32_e32 v1, 0x300, v0
	buffer_load_dword v3, off, s[28:31], 0 offset:44 ; 4-byte Folded Reload
	v_ashrrev_i32_e32 v2, 31, v1
	v_lshlrev_b64 v[1:2], 2, v[1:2]
	v_add_co_u32 v1, vcc_lo, s12, v1
	v_add_co_ci_u32_e64 v2, null, s13, v2, vcc_lo
	global_store_dword v[1:2], v47, off
	v_add_nc_u32_e32 v1, 0x380, v0
	v_ashrrev_i32_e32 v2, 31, v1
	v_lshlrev_b64 v[1:2], 2, v[1:2]
	v_add_co_u32 v1, vcc_lo, s12, v1
	v_add_co_ci_u32_e64 v2, null, s13, v2, vcc_lo
	global_store_dword v[1:2], v46, off
	v_add_nc_u32_e32 v1, 0x400, v0
	;; [unrolled: 6-line block ×23, first 2 shown]
	v_ashrrev_i32_e32 v2, 31, v1
	v_lshlrev_b64 v[1:2], 2, v[1:2]
	v_add_co_u32 v1, vcc_lo, s12, v1
	v_add_co_ci_u32_e64 v2, null, s13, v2, vcc_lo
	s_waitcnt vmcnt(0)
	global_store_dword v[1:2], v3, off
	buffer_load_dword v3, off, s[28:31], 0 offset:40 ; 4-byte Folded Reload
	v_add_nc_u32_e32 v1, 0xf00, v0
	v_ashrrev_i32_e32 v2, 31, v1
	v_lshlrev_b64 v[1:2], 2, v[1:2]
	v_add_co_u32 v1, vcc_lo, s12, v1
	v_add_co_ci_u32_e64 v2, null, s13, v2, vcc_lo
	s_waitcnt vmcnt(0)
	global_store_dword v[1:2], v3, off
	buffer_load_dword v3, off, s[28:31], 0 offset:36 ; 4-byte Folded Reload
	v_add_nc_u32_e32 v1, 0xf80, v0
	;; [unrolled: 8-line block ×6, first 2 shown]
	v_ashrrev_i32_e32 v2, 31, v1
	v_lshlrev_b64 v[1:2], 2, v[1:2]
	v_add_co_u32 v1, vcc_lo, s12, v1
	v_add_co_ci_u32_e64 v2, null, s13, v2, vcc_lo
	s_waitcnt vmcnt(0)
	global_store_dword v[1:2], v3, off
	v_add_nc_u32_e32 v1, 0x1200, v0
	v_ashrrev_i32_e32 v2, 31, v1
	v_lshlrev_b64 v[1:2], 2, v[1:2]
	v_add_co_u32 v1, vcc_lo, s12, v1
	v_add_co_ci_u32_e64 v2, null, s13, v2, vcc_lo
	global_store_dword v[1:2], v56, off
	v_add_nc_u32_e32 v1, 0x1280, v0
	v_ashrrev_i32_e32 v2, 31, v1
	v_lshlrev_b64 v[1:2], 2, v[1:2]
	v_add_co_u32 v1, vcc_lo, s12, v1
	v_add_co_ci_u32_e64 v2, null, s13, v2, vcc_lo
	;; [unrolled: 6-line block ×90, first 2 shown]
	global_store_dword v[1:2], v15, off
	v_add_nc_u32_e32 v1, 0x3f00, v0
	v_add_nc_u32_e32 v0, 0x3f80, v0
	v_ashrrev_i32_e32 v2, 31, v1
	v_lshlrev_b64 v[1:2], 2, v[1:2]
	v_add_co_u32 v1, vcc_lo, s12, v1
	v_add_co_ci_u32_e64 v2, null, s13, v2, vcc_lo
	global_store_dword v[1:2], v13, off
	v_ashrrev_i32_e32 v1, 31, v0
	v_lshlrev_b64 v[0:1], 2, v[0:1]
	v_add_co_u32 v0, vcc_lo, s12, v0
	v_add_co_ci_u32_e64 v1, null, s13, v1, vcc_lo
	global_store_dword v[0:1], v5, off
	s_endpgm
	.section	.rodata,"a",@progbits
	.p2align	6, 0x0
	.amdhsa_kernel _ZL12rwkv_wkv_f32ILi128EEviiiiPKfS1_S1_S1_S1_S1_Pf
		.amdhsa_group_segment_fixed_size 2048
		.amdhsa_private_segment_fixed_size 452
		.amdhsa_kernarg_size 72
		.amdhsa_user_sgpr_count 6
		.amdhsa_user_sgpr_private_segment_buffer 1
		.amdhsa_user_sgpr_dispatch_ptr 0
		.amdhsa_user_sgpr_queue_ptr 0
		.amdhsa_user_sgpr_kernarg_segment_ptr 1
		.amdhsa_user_sgpr_dispatch_id 0
		.amdhsa_user_sgpr_flat_scratch_init 0
		.amdhsa_user_sgpr_private_segment_size 0
		.amdhsa_wavefront_size32 1
		.amdhsa_uses_dynamic_stack 0
		.amdhsa_system_sgpr_private_segment_wavefront_offset 1
		.amdhsa_system_sgpr_workgroup_id_x 1
		.amdhsa_system_sgpr_workgroup_id_y 0
		.amdhsa_system_sgpr_workgroup_id_z 0
		.amdhsa_system_sgpr_workgroup_info 0
		.amdhsa_system_vgpr_workitem_id 0
		.amdhsa_next_free_vgpr 128
		.amdhsa_next_free_sgpr 32
		.amdhsa_reserve_vcc 1
		.amdhsa_reserve_flat_scratch 0
		.amdhsa_float_round_mode_32 0
		.amdhsa_float_round_mode_16_64 0
		.amdhsa_float_denorm_mode_32 3
		.amdhsa_float_denorm_mode_16_64 3
		.amdhsa_dx10_clamp 1
		.amdhsa_ieee_mode 1
		.amdhsa_fp16_overflow 0
		.amdhsa_workgroup_processor_mode 1
		.amdhsa_memory_ordered 1
		.amdhsa_forward_progress 1
		.amdhsa_shared_vgpr_count 0
		.amdhsa_exception_fp_ieee_invalid_op 0
		.amdhsa_exception_fp_denorm_src 0
		.amdhsa_exception_fp_ieee_div_zero 0
		.amdhsa_exception_fp_ieee_overflow 0
		.amdhsa_exception_fp_ieee_underflow 0
		.amdhsa_exception_fp_ieee_inexact 0
		.amdhsa_exception_int_div_zero 0
	.end_amdhsa_kernel
	.section	.text._ZL12rwkv_wkv_f32ILi128EEviiiiPKfS1_S1_S1_S1_S1_Pf,"axG",@progbits,_ZL12rwkv_wkv_f32ILi128EEviiiiPKfS1_S1_S1_S1_S1_Pf,comdat
.Lfunc_end1:
	.size	_ZL12rwkv_wkv_f32ILi128EEviiiiPKfS1_S1_S1_S1_S1_Pf, .Lfunc_end1-_ZL12rwkv_wkv_f32ILi128EEviiiiPKfS1_S1_S1_S1_S1_Pf
                                        ; -- End function
	.set _ZL12rwkv_wkv_f32ILi128EEviiiiPKfS1_S1_S1_S1_S1_Pf.num_vgpr, 128
	.set _ZL12rwkv_wkv_f32ILi128EEviiiiPKfS1_S1_S1_S1_S1_Pf.num_agpr, 0
	.set _ZL12rwkv_wkv_f32ILi128EEviiiiPKfS1_S1_S1_S1_S1_Pf.numbered_sgpr, 32
	.set _ZL12rwkv_wkv_f32ILi128EEviiiiPKfS1_S1_S1_S1_S1_Pf.num_named_barrier, 0
	.set _ZL12rwkv_wkv_f32ILi128EEviiiiPKfS1_S1_S1_S1_S1_Pf.private_seg_size, 452
	.set _ZL12rwkv_wkv_f32ILi128EEviiiiPKfS1_S1_S1_S1_S1_Pf.uses_vcc, 1
	.set _ZL12rwkv_wkv_f32ILi128EEviiiiPKfS1_S1_S1_S1_S1_Pf.uses_flat_scratch, 0
	.set _ZL12rwkv_wkv_f32ILi128EEviiiiPKfS1_S1_S1_S1_S1_Pf.has_dyn_sized_stack, 0
	.set _ZL12rwkv_wkv_f32ILi128EEviiiiPKfS1_S1_S1_S1_S1_Pf.has_recursion, 0
	.set _ZL12rwkv_wkv_f32ILi128EEviiiiPKfS1_S1_S1_S1_S1_Pf.has_indirect_call, 0
	.section	.AMDGPU.csdata,"",@progbits
; Kernel info:
; codeLenInByte = 18260
; TotalNumSgprs: 34
; NumVgprs: 128
; ScratchSize: 452
; MemoryBound: 0
; FloatMode: 240
; IeeeMode: 1
; LDSByteSize: 2048 bytes/workgroup (compile time only)
; SGPRBlocks: 0
; VGPRBlocks: 15
; NumSGPRsForWavesPerEU: 34
; NumVGPRsForWavesPerEU: 128
; Occupancy: 8
; WaveLimiterHint : 1
; COMPUTE_PGM_RSRC2:SCRATCH_EN: 1
; COMPUTE_PGM_RSRC2:USER_SGPR: 6
; COMPUTE_PGM_RSRC2:TRAP_HANDLER: 0
; COMPUTE_PGM_RSRC2:TGID_X_EN: 1
; COMPUTE_PGM_RSRC2:TGID_Y_EN: 0
; COMPUTE_PGM_RSRC2:TGID_Z_EN: 0
; COMPUTE_PGM_RSRC2:TIDIG_COMP_CNT: 0
	.section	.text._ZL13rwkv_wkv7_f32ILi64EEviiiiPKfS1_S1_S1_S1_S1_S1_Pf,"axG",@progbits,_ZL13rwkv_wkv7_f32ILi64EEviiiiPKfS1_S1_S1_S1_S1_S1_Pf,comdat
	.globl	_ZL13rwkv_wkv7_f32ILi64EEviiiiPKfS1_S1_S1_S1_S1_S1_Pf ; -- Begin function _ZL13rwkv_wkv7_f32ILi64EEviiiiPKfS1_S1_S1_S1_S1_S1_Pf
	.p2align	8
	.type	_ZL13rwkv_wkv7_f32ILi64EEviiiiPKfS1_S1_S1_S1_S1_S1_Pf,@function
_ZL13rwkv_wkv7_f32ILi64EEviiiiPKfS1_S1_S1_S1_S1_S1_Pf: ; @_ZL13rwkv_wkv7_f32ILi64EEviiiiPKfS1_S1_S1_S1_S1_S1_Pf
; %bb.0:
	s_load_dwordx4 s[0:3], s[4:5], 0x0
	s_abs_i32 s10, s6
	s_waitcnt lgkmcnt(0)
	s_abs_i32 s7, s3
	v_cvt_f32_u32_e32 v1, s7
	s_sub_i32 s9, 0, s7
	v_rcp_iflag_f32_e32 v1, v1
	v_mul_f32_e32 v1, 0x4f7ffffe, v1
	v_cvt_u32_f32_e32 v1, v1
	v_readfirstlane_b32 s8, v1
	v_lshlrev_b32_e32 v1, 6, v0
	s_mul_i32 s9, s9, s8
	s_mul_hi_u32 s9, s8, s9
	s_add_i32 s8, s8, s9
	s_xor_b32 s9, s6, s3
	s_mul_hi_u32 s8, s10, s8
	s_ashr_i32 s24, s9, 31
	s_mul_i32 s11, s8, s7
	s_sub_i32 s9, s10, s11
	s_add_i32 s10, s8, 1
	s_sub_i32 s11, s9, s7
	s_cmp_ge_u32 s9, s7
	s_cselect_b32 s8, s10, s8
	s_cselect_b32 s9, s11, s9
	s_add_i32 s10, s8, 1
	s_cmp_ge_u32 s9, s7
	s_cselect_b32 s7, s10, s8
	s_load_dwordx16 s[8:23], s[4:5], 0x10
	s_xor_b32 s7, s7, s24
	s_sub_i32 s4, s7, s24
	s_mul_i32 s3, s4, s3
	s_mul_i32 s5, s2, s4
	s_sub_i32 s3, s6, s3
	s_lshl_b32 s5, s5, 6
	s_lshl_b32 s6, s3, 12
	v_add3_u32 v69, s6, s5, v1
	s_abs_i32 s5, s0
	s_xor_b32 s0, s1, s0
	v_cvt_f32_u32_e32 v65, s5
	s_sub_i32 s7, 0, s5
	v_ashrrev_i32_e32 v70, 31, v69
	s_ashr_i32 s0, s0, 31
	v_rcp_iflag_f32_e32 v65, v65
	v_lshlrev_b64 v[1:2], 2, v[69:70]
	s_waitcnt lgkmcnt(0)
	v_add_co_u32 v1, vcc_lo, s20, v1
	v_add_co_ci_u32_e64 v2, null, s21, v2, vcc_lo
	v_mul_f32_e32 v65, 0x4f7ffffe, v65
	s_abs_i32 s20, s1
	s_clause 0xf
	global_load_dwordx4 v[61:64], v[1:2], off
	global_load_dwordx4 v[57:60], v[1:2], off offset:16
	global_load_dwordx4 v[53:56], v[1:2], off offset:32
	;; [unrolled: 1-line block ×15, first 2 shown]
	v_cvt_u32_f32_e32 v65, v65
	v_readfirstlane_b32 s6, v65
	v_lshl_add_u32 v65, s3, 6, v0
	s_mul_i32 s7, s7, s6
	s_mul_hi_u32 s7, s6, s7
	s_add_i32 s6, s6, s7
	s_mul_hi_u32 s6, s20, s6
	s_mul_i32 s7, s6, s5
	s_sub_i32 s7, s20, s7
	s_add_i32 s20, s6, 1
	s_sub_i32 s21, s7, s5
	s_cmp_ge_u32 s7, s5
	s_cselect_b32 s6, s20, s6
	s_cselect_b32 s7, s21, s7
	s_add_i32 s20, s6, 1
	s_cmp_ge_u32 s7, s5
	s_mov_b32 s7, 0
	s_cselect_b32 s5, s20, s6
	s_add_i32 s3, s4, 1
	s_xor_b32 s5, s5, s0
	s_mov_b32 s6, exec_lo
	s_sub_i32 s0, s5, s0
	s_mul_i32 s0, s0, s2
	v_mad_u64_u32 v[70:71], null, s0, s4, v[65:66]
	v_mad_u64_u32 v[72:73], null, s0, s3, v[65:66]
	v_cmpx_lt_i32_e64 v70, v72
	s_cbranch_execz .LBB2_4
; %bb.1:
	v_ashrrev_i32_e32 v71, 31, v70
	v_lshlrev_b32_e32 v0, 2, v0
	s_ashr_i32 s3, s2, 31
	s_lshl_b64 s[4:5], s[2:3], 2
	v_lshlrev_b64 v[73:74], 2, v[70:71]
	v_add_nc_u32_e32 v81, 0x300, v0
	v_add_nc_u32_e32 v82, 0x400, v0
	;; [unrolled: 1-line block ×4, first 2 shown]
	v_mov_b32_e32 v71, 0
.LBB2_2:                                ; =>This Inner Loop Header: Depth=1
	v_add_co_u32 v65, vcc_lo, s8, v73
	v_add_co_ci_u32_e64 v66, null, s9, v74, vcc_lo
	v_add_co_u32 v67, vcc_lo, s10, v73
	v_add_co_ci_u32_e64 v68, null, s11, v74, vcc_lo
	;; [unrolled: 2-line block ×5, first 2 shown]
	s_waitcnt vmcnt(0)
	s_barrier
	buffer_gl0_inv
	global_load_dword v65, v[65:66], off
	global_load_dword v66, v[67:68], off
	global_load_dword v67, v[75:76], off
	global_load_dword v68, v[77:78], off
	global_load_dword v75, v[79:80], off
	v_add_co_u32 v89, vcc_lo, s14, v73
	v_add_co_ci_u32_e64 v90, null, s15, v74, vcc_lo
	v_add_nc_u32_e32 v70, s2, v70
	s_waitcnt vmcnt(4)
	ds_write_b32 v81, v65
	s_waitcnt vmcnt(3)
	ds_write_b32 v82, v66
	;; [unrolled: 2-line block ×5, first 2 shown]
	s_waitcnt lgkmcnt(0)
	s_barrier
	buffer_gl0_inv
	ds_read_b128 v[65:68], v71
	ds_read_b128 v[76:79], v71 offset:1024
	ds_read_b128 v[85:88], v71 offset:16
	v_cmp_ge_i32_e64 s0, v70, v72
	s_or_b32 s7, s0, s7
	s_waitcnt lgkmcnt(2)
	v_fma_f32 v75, v65, v61, 0
	s_waitcnt lgkmcnt(1)
	v_mul_f32_e32 v61, v61, v76
	global_load_dword v76, v[89:90], off
	ds_read_b128 v[89:92], v71 offset:240
	v_fmac_f32_e32 v75, v66, v62
	v_mul_f32_e32 v62, v62, v77
	v_fmac_f32_e32 v75, v67, v63
	v_mul_f32_e32 v63, v63, v78
	v_fmac_f32_e32 v75, v68, v64
	ds_read_b128 v[65:68], v71 offset:1040
	v_mul_f32_e32 v64, v64, v79
	ds_read_b128 v[77:80], v71 offset:32
	s_waitcnt lgkmcnt(3)
	v_fmac_f32_e32 v75, v85, v57
	v_fmac_f32_e32 v75, v86, v58
	v_fmac_f32_e32 v75, v87, v59
	v_fmac_f32_e32 v75, v88, v60
	ds_read_b128 v[85:88], v71 offset:1056
	s_waitcnt lgkmcnt(2)
	v_mul_f32_e32 v57, v57, v65
	v_mul_f32_e32 v58, v58, v66
	v_mul_f32_e32 v59, v59, v67
	v_mul_f32_e32 v60, v60, v68
	ds_read_b128 v[65:68], v71 offset:48
	s_waitcnt lgkmcnt(2)
	v_fmac_f32_e32 v75, v77, v53
	v_fmac_f32_e32 v75, v78, v54
	v_fmac_f32_e32 v75, v79, v55
	s_waitcnt lgkmcnt(1)
	v_mul_f32_e32 v53, v53, v85
	v_fmac_f32_e32 v75, v80, v56
	ds_read_b128 v[77:80], v71 offset:1072
	v_mul_f32_e32 v54, v54, v86
	v_mul_f32_e32 v55, v55, v87
	v_mul_f32_e32 v56, v56, v88
	ds_read_b128 v[85:88], v71 offset:64
	s_waitcnt lgkmcnt(2)
	v_fmac_f32_e32 v75, v65, v45
	v_fmac_f32_e32 v75, v66, v46
	v_fmac_f32_e32 v75, v67, v47
	v_fmac_f32_e32 v75, v68, v48
	ds_read_b128 v[65:68], v71 offset:1088
	s_waitcnt lgkmcnt(2)
	v_mul_f32_e32 v45, v45, v77
	v_mul_f32_e32 v46, v46, v78
	v_mul_f32_e32 v47, v47, v79
	v_mul_f32_e32 v48, v48, v80
	ds_read_b128 v[77:80], v71 offset:80
	s_waitcnt lgkmcnt(2)
	v_fmac_f32_e32 v75, v85, v49
	v_fmac_f32_e32 v75, v86, v50
	v_fmac_f32_e32 v75, v87, v51
	s_waitcnt lgkmcnt(1)
	v_mul_f32_e32 v49, v49, v65
	v_fmac_f32_e32 v75, v88, v52
	ds_read_b128 v[85:88], v71 offset:1104
	v_mul_f32_e32 v50, v50, v66
	v_mul_f32_e32 v51, v51, v67
	;; [unrolled: 24-line block ×5, first 2 shown]
	v_mul_f32_e32 v24, v24, v68
	ds_read_b128 v[65:68], v71 offset:192
	s_waitcnt lgkmcnt(2)
	v_fmac_f32_e32 v75, v77, v17
	v_fmac_f32_e32 v75, v78, v18
	;; [unrolled: 1-line block ×4, first 2 shown]
	ds_read_b128 v[77:80], v71 offset:1216
	s_waitcnt lgkmcnt(2)
	v_mul_f32_e32 v17, v17, v85
	v_mul_f32_e32 v18, v18, v86
	;; [unrolled: 1-line block ×4, first 2 shown]
	ds_read_b128 v[85:88], v71 offset:208
	s_waitcnt lgkmcnt(2)
	v_fmac_f32_e32 v75, v65, v13
	v_fmac_f32_e32 v75, v66, v14
	;; [unrolled: 1-line block ×3, first 2 shown]
	s_waitcnt lgkmcnt(1)
	v_mul_f32_e32 v13, v13, v77
	v_fmac_f32_e32 v75, v68, v16
	v_mul_f32_e32 v14, v14, v78
	v_mul_f32_e32 v15, v15, v79
	;; [unrolled: 1-line block ×3, first 2 shown]
	ds_read_b128 v[77:80], v71 offset:224
	s_waitcnt lgkmcnt(1)
	v_fmac_f32_e32 v75, v85, v9
	ds_read_b128 v[65:68], v71 offset:1232
	v_fmac_f32_e32 v75, v86, v10
	v_fmac_f32_e32 v75, v87, v11
	;; [unrolled: 1-line block ×3, first 2 shown]
	ds_read_b128 v[85:88], v71 offset:1248
	s_waitcnt lgkmcnt(2)
	v_fmac_f32_e32 v75, v77, v5
	s_waitcnt lgkmcnt(1)
	v_mul_f32_e32 v9, v9, v65
	v_mul_f32_e32 v10, v10, v66
	;; [unrolled: 1-line block ×4, first 2 shown]
	v_fmac_f32_e32 v75, v78, v6
	v_fmac_f32_e32 v75, v79, v7
	;; [unrolled: 1-line block ×3, first 2 shown]
	ds_read_b128 v[77:80], v71 offset:1264
	s_waitcnt lgkmcnt(1)
	v_mul_f32_e32 v5, v5, v85
	v_mul_f32_e32 v6, v6, v86
	;; [unrolled: 1-line block ×4, first 2 shown]
	ds_read_b128 v[65:68], v71 offset:512
	ds_read_b128 v[85:88], v71 offset:528
	v_fmac_f32_e32 v75, v89, v1
	v_fmac_f32_e32 v75, v90, v2
	;; [unrolled: 1-line block ×3, first 2 shown]
	s_waitcnt lgkmcnt(2)
	v_mul_f32_e32 v1, v1, v77
	v_fmac_f32_e32 v75, v92, v4
	v_mul_f32_e32 v2, v2, v78
	v_mul_f32_e32 v3, v3, v79
	s_waitcnt vmcnt(0) lgkmcnt(1)
	v_fmac_f32_e32 v61, v76, v65
	v_fmac_f32_e32 v62, v76, v66
	;; [unrolled: 1-line block ×4, first 2 shown]
	s_waitcnt lgkmcnt(0)
	v_fmac_f32_e32 v57, v76, v85
	v_fmac_f32_e32 v58, v76, v86
	;; [unrolled: 1-line block ×4, first 2 shown]
	ds_read_b128 v[65:68], v71 offset:544
	ds_read_b128 v[85:88], v71 offset:560
	v_mul_f32_e32 v4, v4, v80
	s_waitcnt lgkmcnt(1)
	v_fmac_f32_e32 v53, v76, v65
	v_fmac_f32_e32 v54, v76, v66
	v_fmac_f32_e32 v55, v76, v67
	v_fmac_f32_e32 v56, v76, v68
	s_waitcnt lgkmcnt(0)
	v_fmac_f32_e32 v45, v76, v85
	v_fmac_f32_e32 v46, v76, v86
	v_fmac_f32_e32 v47, v76, v87
	v_fmac_f32_e32 v48, v76, v88
	ds_read_b128 v[65:68], v71 offset:576
	ds_read_b128 v[85:88], v71 offset:592
	s_waitcnt lgkmcnt(1)
	v_fmac_f32_e32 v49, v76, v65
	v_fmac_f32_e32 v50, v76, v66
	v_fmac_f32_e32 v51, v76, v67
	v_fmac_f32_e32 v52, v76, v68
	s_waitcnt lgkmcnt(0)
	v_fmac_f32_e32 v41, v76, v85
	v_fmac_f32_e32 v42, v76, v86
	v_fmac_f32_e32 v43, v76, v87
	v_fmac_f32_e32 v44, v76, v88
	ds_read_b128 v[65:68], v71 offset:608
	ds_read_b128 v[85:88], v71 offset:624
	;; [unrolled: 12-line block ×6, first 2 shown]
	ds_read_b128 v[77:80], v71 offset:272
	s_waitcnt lgkmcnt(2)
	v_fmac_f32_e32 v5, v76, v85
	v_fmac_f32_e32 v6, v76, v86
	;; [unrolled: 1-line block ×4, first 2 shown]
	ds_read_b128 v[85:88], v71 offset:256
	s_waitcnt lgkmcnt(1)
	v_fmac_f32_e32 v57, v75, v77
	v_fmac_f32_e32 v58, v75, v78
	;; [unrolled: 1-line block ×4, first 2 shown]
	ds_read_b128 v[77:80], v71 offset:304
	v_fmac_f32_e32 v1, v76, v65
	v_fmac_f32_e32 v2, v76, v66
	;; [unrolled: 1-line block ×4, first 2 shown]
	v_add_co_u32 v65, vcc_lo, s22, v73
	v_add_co_ci_u32_e64 v66, null, s23, v74, vcc_lo
	v_add_co_u32 v73, vcc_lo, v73, s4
	v_add_co_ci_u32_e64 v74, null, s5, v74, vcc_lo
	s_waitcnt lgkmcnt(1)
	v_fmac_f32_e32 v61, v75, v85
	v_fmac_f32_e32 v62, v75, v86
	v_fmac_f32_e32 v63, v75, v87
	v_fmac_f32_e32 v64, v75, v88
	ds_read_b128 v[85:88], v71 offset:288
	s_waitcnt lgkmcnt(1)
	v_fmac_f32_e32 v45, v75, v77
	v_fmac_f32_e32 v46, v75, v78
	v_fmac_f32_e32 v47, v75, v79
	v_fmac_f32_e32 v48, v75, v80
	ds_read_b128 v[77:80], v71 offset:336
	;; [unrolled: 6-line block ×13, first 2 shown]
	s_waitcnt lgkmcnt(1)
	v_fmac_f32_e32 v1, v75, v77
	v_fmac_f32_e32 v2, v75, v78
	;; [unrolled: 1-line block ×4, first 2 shown]
	s_waitcnt lgkmcnt(0)
	v_fmac_f32_e32 v5, v75, v85
	v_fmac_f32_e32 v6, v75, v86
	;; [unrolled: 1-line block ×4, first 2 shown]
	ds_read_b128 v[85:88], v71 offset:768
	ds_read_b128 v[89:92], v71 offset:784
	s_waitcnt lgkmcnt(1)
	v_fma_f32 v93, v61, v85, 0
	v_fmac_f32_e32 v93, v62, v86
	v_fmac_f32_e32 v93, v63, v87
	v_fmac_f32_e32 v93, v64, v88
	s_waitcnt lgkmcnt(0)
	v_fmac_f32_e32 v93, v57, v89
	v_fmac_f32_e32 v93, v58, v90
	v_fmac_f32_e32 v93, v59, v91
	v_fmac_f32_e32 v93, v60, v92
	ds_read_b128 v[85:88], v71 offset:800
	ds_read_b128 v[89:92], v71 offset:816
	s_waitcnt lgkmcnt(1)
	v_fmac_f32_e32 v93, v53, v85
	v_fmac_f32_e32 v93, v54, v86
	v_fmac_f32_e32 v93, v55, v87
	v_fmac_f32_e32 v93, v56, v88
	s_waitcnt lgkmcnt(0)
	v_fmac_f32_e32 v93, v45, v89
	v_fmac_f32_e32 v93, v46, v90
	v_fmac_f32_e32 v93, v47, v91
	v_fmac_f32_e32 v93, v48, v92
	ds_read_b128 v[85:88], v71 offset:832
	ds_read_b128 v[89:92], v71 offset:848
	s_waitcnt lgkmcnt(1)
	v_fmac_f32_e32 v93, v49, v85
	;; [unrolled: 12-line block ×7, first 2 shown]
	v_fmac_f32_e32 v93, v6, v86
	v_fmac_f32_e32 v93, v7, v87
	;; [unrolled: 1-line block ×3, first 2 shown]
	s_waitcnt lgkmcnt(0)
	v_fmac_f32_e32 v93, v1, v89
	v_fmac_f32_e32 v93, v2, v90
	;; [unrolled: 1-line block ×4, first 2 shown]
	global_store_dword v[65:66], v93, off
	s_andn2_b32 exec_lo, exec_lo, s7
	s_cbranch_execnz .LBB2_2
; %bb.3:
	s_or_b32 exec_lo, exec_lo, s7
.LBB2_4:
	s_or_b32 exec_lo, exec_lo, s6
	v_mad_u64_u32 v[65:66], null, s2, s1, v[69:70]
	v_ashrrev_i32_e32 v66, 31, v65
	v_lshlrev_b64 v[65:66], 2, v[65:66]
	v_add_co_u32 v65, vcc_lo, s22, v65
	v_add_co_ci_u32_e64 v66, null, s23, v66, vcc_lo
	s_waitcnt vmcnt(15)
	global_store_dwordx4 v[65:66], v[61:64], off
	s_waitcnt vmcnt(14)
	global_store_dwordx4 v[65:66], v[57:60], off offset:16
	s_waitcnt vmcnt(13)
	global_store_dwordx4 v[65:66], v[53:56], off offset:32
	;; [unrolled: 2-line block ×15, first 2 shown]
	s_endpgm
	.section	.rodata,"a",@progbits
	.p2align	6, 0x0
	.amdhsa_kernel _ZL13rwkv_wkv7_f32ILi64EEviiiiPKfS1_S1_S1_S1_S1_S1_Pf
		.amdhsa_group_segment_fixed_size 1280
		.amdhsa_private_segment_fixed_size 0
		.amdhsa_kernarg_size 80
		.amdhsa_user_sgpr_count 6
		.amdhsa_user_sgpr_private_segment_buffer 1
		.amdhsa_user_sgpr_dispatch_ptr 0
		.amdhsa_user_sgpr_queue_ptr 0
		.amdhsa_user_sgpr_kernarg_segment_ptr 1
		.amdhsa_user_sgpr_dispatch_id 0
		.amdhsa_user_sgpr_flat_scratch_init 0
		.amdhsa_user_sgpr_private_segment_size 0
		.amdhsa_wavefront_size32 1
		.amdhsa_uses_dynamic_stack 0
		.amdhsa_system_sgpr_private_segment_wavefront_offset 0
		.amdhsa_system_sgpr_workgroup_id_x 1
		.amdhsa_system_sgpr_workgroup_id_y 0
		.amdhsa_system_sgpr_workgroup_id_z 0
		.amdhsa_system_sgpr_workgroup_info 0
		.amdhsa_system_vgpr_workitem_id 0
		.amdhsa_next_free_vgpr 94
		.amdhsa_next_free_sgpr 25
		.amdhsa_reserve_vcc 1
		.amdhsa_reserve_flat_scratch 0
		.amdhsa_float_round_mode_32 0
		.amdhsa_float_round_mode_16_64 0
		.amdhsa_float_denorm_mode_32 3
		.amdhsa_float_denorm_mode_16_64 3
		.amdhsa_dx10_clamp 1
		.amdhsa_ieee_mode 1
		.amdhsa_fp16_overflow 0
		.amdhsa_workgroup_processor_mode 1
		.amdhsa_memory_ordered 1
		.amdhsa_forward_progress 1
		.amdhsa_shared_vgpr_count 0
		.amdhsa_exception_fp_ieee_invalid_op 0
		.amdhsa_exception_fp_denorm_src 0
		.amdhsa_exception_fp_ieee_div_zero 0
		.amdhsa_exception_fp_ieee_overflow 0
		.amdhsa_exception_fp_ieee_underflow 0
		.amdhsa_exception_fp_ieee_inexact 0
		.amdhsa_exception_int_div_zero 0
	.end_amdhsa_kernel
	.section	.text._ZL13rwkv_wkv7_f32ILi64EEviiiiPKfS1_S1_S1_S1_S1_S1_Pf,"axG",@progbits,_ZL13rwkv_wkv7_f32ILi64EEviiiiPKfS1_S1_S1_S1_S1_S1_Pf,comdat
.Lfunc_end2:
	.size	_ZL13rwkv_wkv7_f32ILi64EEviiiiPKfS1_S1_S1_S1_S1_S1_Pf, .Lfunc_end2-_ZL13rwkv_wkv7_f32ILi64EEviiiiPKfS1_S1_S1_S1_S1_S1_Pf
                                        ; -- End function
	.set _ZL13rwkv_wkv7_f32ILi64EEviiiiPKfS1_S1_S1_S1_S1_S1_Pf.num_vgpr, 94
	.set _ZL13rwkv_wkv7_f32ILi64EEviiiiPKfS1_S1_S1_S1_S1_S1_Pf.num_agpr, 0
	.set _ZL13rwkv_wkv7_f32ILi64EEviiiiPKfS1_S1_S1_S1_S1_S1_Pf.numbered_sgpr, 25
	.set _ZL13rwkv_wkv7_f32ILi64EEviiiiPKfS1_S1_S1_S1_S1_S1_Pf.num_named_barrier, 0
	.set _ZL13rwkv_wkv7_f32ILi64EEviiiiPKfS1_S1_S1_S1_S1_S1_Pf.private_seg_size, 0
	.set _ZL13rwkv_wkv7_f32ILi64EEviiiiPKfS1_S1_S1_S1_S1_S1_Pf.uses_vcc, 1
	.set _ZL13rwkv_wkv7_f32ILi64EEviiiiPKfS1_S1_S1_S1_S1_S1_Pf.uses_flat_scratch, 0
	.set _ZL13rwkv_wkv7_f32ILi64EEviiiiPKfS1_S1_S1_S1_S1_S1_Pf.has_dyn_sized_stack, 0
	.set _ZL13rwkv_wkv7_f32ILi64EEviiiiPKfS1_S1_S1_S1_S1_S1_Pf.has_recursion, 0
	.set _ZL13rwkv_wkv7_f32ILi64EEviiiiPKfS1_S1_S1_S1_S1_S1_Pf.has_indirect_call, 0
	.section	.AMDGPU.csdata,"",@progbits
; Kernel info:
; codeLenInByte = 3324
; TotalNumSgprs: 27
; NumVgprs: 94
; ScratchSize: 0
; MemoryBound: 0
; FloatMode: 240
; IeeeMode: 1
; LDSByteSize: 1280 bytes/workgroup (compile time only)
; SGPRBlocks: 0
; VGPRBlocks: 11
; NumSGPRsForWavesPerEU: 27
; NumVGPRsForWavesPerEU: 94
; Occupancy: 10
; WaveLimiterHint : 0
; COMPUTE_PGM_RSRC2:SCRATCH_EN: 0
; COMPUTE_PGM_RSRC2:USER_SGPR: 6
; COMPUTE_PGM_RSRC2:TRAP_HANDLER: 0
; COMPUTE_PGM_RSRC2:TGID_X_EN: 1
; COMPUTE_PGM_RSRC2:TGID_Y_EN: 0
; COMPUTE_PGM_RSRC2:TGID_Z_EN: 0
; COMPUTE_PGM_RSRC2:TIDIG_COMP_CNT: 0
	.section	.text._ZL13rwkv_wkv7_f32ILi128EEviiiiPKfS1_S1_S1_S1_S1_S1_Pf,"axG",@progbits,_ZL13rwkv_wkv7_f32ILi128EEviiiiPKfS1_S1_S1_S1_S1_S1_Pf,comdat
	.globl	_ZL13rwkv_wkv7_f32ILi128EEviiiiPKfS1_S1_S1_S1_S1_S1_Pf ; -- Begin function _ZL13rwkv_wkv7_f32ILi128EEviiiiPKfS1_S1_S1_S1_S1_S1_Pf
	.p2align	8
	.type	_ZL13rwkv_wkv7_f32ILi128EEviiiiPKfS1_S1_S1_S1_S1_S1_Pf,@function
_ZL13rwkv_wkv7_f32ILi128EEviiiiPKfS1_S1_S1_S1_S1_S1_Pf: ; @_ZL13rwkv_wkv7_f32ILi128EEviiiiPKfS1_S1_S1_S1_S1_S1_Pf
; %bb.0:
	s_mov_b64 s[30:31], s[2:3]
	s_mov_b64 s[28:29], s[0:1]
	s_clause 0x1
	s_load_dwordx4 s[0:3], s[4:5], 0x0
	s_load_dwordx16 s[8:23], s[4:5], 0x10
	s_add_u32 s28, s28, s7
	s_addc_u32 s29, s29, 0
	s_abs_i32 s5, s6
	s_mov_b32 s7, 0
	s_waitcnt lgkmcnt(0)
	s_abs_i32 s24, s3
	s_xor_b32 s4, s6, s3
	v_cvt_f32_u32_e32 v1, s24
	s_sub_i32 s25, 0, s24
	s_ashr_i32 s4, s4, 31
	v_rcp_iflag_f32_e32 v1, v1
	v_mul_f32_e32 v1, 0x4f7ffffe, v1
	v_cvt_u32_f32_e32 v1, v1
	v_readfirstlane_b32 s26, v1
	v_lshlrev_b32_e32 v1, 7, v0
	s_mul_i32 s25, s25, s26
	s_mul_hi_u32 s25, s26, s25
	s_add_i32 s26, s26, s25
	s_mul_hi_u32 s25, s5, s26
	s_mul_i32 s26, s25, s24
	s_sub_i32 s5, s5, s26
	s_add_i32 s26, s25, 1
	s_sub_i32 s27, s5, s24
	s_cmp_ge_u32 s5, s24
	s_cselect_b32 s25, s26, s25
	s_cselect_b32 s5, s27, s5
	s_add_i32 s26, s25, 1
	s_cmp_ge_u32 s5, s24
	s_cselect_b32 s5, s26, s25
	s_xor_b32 s5, s5, s4
	s_sub_i32 s4, s5, s4
	s_mul_i32 s3, s4, s3
	s_mul_i32 s5, s2, s4
	s_sub_i32 s3, s6, s3
	s_lshl_b32 s5, s5, 7
	s_lshl_b32 s6, s3, 14
	v_add3_u32 v2, s6, s5, v1
	s_xor_b32 s5, s1, s0
	s_abs_i32 s0, s0
	s_abs_i32 s6, s1
	s_ashr_i32 s5, s5, 31
	v_mov_b32_e32 v1, v2
	v_ashrrev_i32_e32 v3, 31, v2
	buffer_store_dword v1, off, s[28:31], 0 offset:124 ; 4-byte Folded Spill
	buffer_store_dword v2, off, s[28:31], 0 offset:128 ; 4-byte Folded Spill
	v_lshlrev_b64 v[1:2], 2, v[2:3]
	v_add_co_u32 v125, vcc_lo, s20, v1
	v_add_co_ci_u32_e64 v126, null, s21, v2, vcc_lo
	s_sub_i32 s20, 0, s0
	s_clause 0x1e
	global_load_dwordx4 v[13:16], v[125:126], off
	global_load_dwordx4 v[9:12], v[125:126], off offset:16
	global_load_dwordx4 v[1:4], v[125:126], off offset:32
	;; [unrolled: 1-line block ×30, first 2 shown]
	s_waitcnt vmcnt(0)
	buffer_store_dword v5, off, s[28:31], 0 offset:72 ; 4-byte Folded Spill
	buffer_store_dword v6, off, s[28:31], 0 offset:76 ; 4-byte Folded Spill
	;; [unrolled: 1-line block ×4, first 2 shown]
	global_load_dwordx4 v[5:8], v[125:126], off offset:496
	s_waitcnt vmcnt(0)
	buffer_store_dword v5, off, s[28:31], 0 offset:56 ; 4-byte Folded Spill
	buffer_store_dword v6, off, s[28:31], 0 offset:60 ; 4-byte Folded Spill
	;; [unrolled: 1-line block ×4, first 2 shown]
	v_cvt_f32_u32_e32 v5, s0
	v_rcp_iflag_f32_e32 v5, v5
	v_mul_f32_e32 v5, 0x4f7ffffe, v5
	v_cvt_u32_f32_e32 v5, v5
	v_readfirstlane_b32 s21, v5
	v_lshl_add_u32 v5, s3, 7, v0
	s_mul_i32 s20, s20, s21
	s_mul_hi_u32 s20, s21, s20
	s_add_i32 s21, s21, s20
	s_mul_hi_u32 s20, s6, s21
	s_mul_i32 s21, s20, s0
	s_sub_i32 s6, s6, s21
	s_add_i32 s21, s20, 1
	s_sub_i32 s24, s6, s0
	s_cmp_ge_u32 s6, s0
	s_cselect_b32 s20, s21, s20
	s_cselect_b32 s6, s24, s6
	s_add_i32 s21, s20, 1
	s_cmp_ge_u32 s6, s0
	s_mov_b32 s6, exec_lo
	s_cselect_b32 s0, s21, s20
	s_xor_b32 s0, s0, s5
	s_sub_i32 s0, s0, s5
	s_mul_i32 s0, s0, s2
	v_mad_u64_u32 v[7:8], null, s0, s4, v[5:6]
	s_add_i32 s4, s4, 1
	v_mad_u64_u32 v[5:6], null, s0, s4, v[5:6]
	v_cmpx_lt_i32_e64 v7, v5
	s_cbranch_execz .LBB3_4
; %bb.1:
	v_ashrrev_i32_e32 v8, 31, v7
	v_lshlrev_b32_e32 v0, 2, v0
	s_ashr_i32 s3, s2, 31
	s_lshl_b64 s[4:5], s[2:3], 2
	v_lshlrev_b64 v[125:126], 2, v[7:8]
	buffer_store_dword v0, off, s[28:31], 0 offset:120 ; 4-byte Folded Spill
	buffer_store_dword v17, off, s[28:31], 0 offset:88 ; 4-byte Folded Spill
	;; [unrolled: 1-line block ×19, first 2 shown]
.LBB3_2:                                ; =>This Inner Loop Header: Depth=1
	buffer_store_dword v125, off, s[28:31], 0 ; 4-byte Folded Spill
	buffer_store_dword v126, off, s[28:31], 0 offset:4 ; 4-byte Folded Spill
	buffer_store_dword v7, off, s[28:31], 0 offset:104 ; 4-byte Folded Spill
	;; [unrolled: 1-line block ×3, first 2 shown]
	s_waitcnt_vscnt null, 0x0
	s_barrier
	s_waitcnt vmcnt(0)
	buffer_gl0_inv
	v_add_co_u32 v5, vcc_lo, s8, v125
	v_add_co_ci_u32_e64 v6, null, s9, v126, vcc_lo
	global_load_dword v0, v[5:6], off
	v_add_co_u32 v5, vcc_lo, s10, v125
	v_add_co_ci_u32_e64 v6, null, s11, v126, vcc_lo
	global_load_dword v7, v[5:6], off
	;; [unrolled: 3-line block ×4, first 2 shown]
	s_clause 0x4
	buffer_load_dword v5, off, s[28:31], 0
	buffer_load_dword v6, off, s[28:31], 0 offset:4
	buffer_load_dword v126, off, s[28:31], 0
	buffer_load_dword v127, off, s[28:31], 0 offset:4
	buffer_load_dword v126, off, s[28:31], 0 offset:120
	s_waitcnt vmcnt(4)
	v_add_co_u32 v5, vcc_lo, s18, v5
	s_waitcnt vmcnt(1)
	v_add_co_ci_u32_e64 v6, null, s19, v127, vcc_lo
	v_mov_b32_e32 v127, 0
	global_load_dword v5, v[5:6], off
	s_waitcnt vmcnt(1)
	v_add_nc_u32_e32 v6, 0x600, v126
	ds_write_b32 v6, v0
	v_add_nc_u32_e32 v0, 0x800, v126
	ds_write_b32 v0, v7
	;; [unrolled: 2-line block ×3, first 2 shown]
	ds_write_b32 v126, v125
	v_add_nc_u32_e32 v0, 0x200, v126
	s_waitcnt vmcnt(0)
	ds_write_b32 v0, v5
	s_waitcnt lgkmcnt(0)
	s_barrier
	buffer_gl0_inv
	ds_read_b128 v[5:8], v127
	s_clause 0x3
	buffer_load_dword v1, off, s[28:31], 0 offset:40
	buffer_load_dword v2, off, s[28:31], 0 offset:44
	;; [unrolled: 1-line block ×4, first 2 shown]
	s_waitcnt vmcnt(3) lgkmcnt(0)
	v_fma_f32 v0, v5, v1, 0
	s_waitcnt vmcnt(2)
	v_fmac_f32_e32 v0, v6, v2
	s_waitcnt vmcnt(1)
	v_fmac_f32_e32 v0, v7, v3
	;; [unrolled: 2-line block ×3, first 2 shown]
	ds_read_b128 v[5:8], v127 offset:2048
	s_waitcnt lgkmcnt(0)
	v_mul_f32_e32 v4, v4, v8
	v_mul_f32_e32 v1, v1, v5
	;; [unrolled: 1-line block ×4, first 2 shown]
	ds_read_b128 v[5:8], v127 offset:16
	v_mov_b32_e32 v12, v4
	v_mov_b32_e32 v9, v1
	;; [unrolled: 1-line block ×4, first 2 shown]
	s_clause 0x3
	buffer_load_dword v1, off, s[28:31], 0 offset:24
	buffer_load_dword v2, off, s[28:31], 0 offset:28
	;; [unrolled: 1-line block ×4, first 2 shown]
	s_waitcnt vmcnt(3) lgkmcnt(0)
	v_fmac_f32_e32 v0, v5, v1
	s_waitcnt vmcnt(0)
	v_mov_b32_e32 v16, v4
	v_mov_b32_e32 v15, v3
	v_fmac_f32_e32 v0, v6, v2
	v_mov_b32_e32 v14, v2
	v_mov_b32_e32 v13, v1
	v_fmac_f32_e32 v0, v7, v3
	v_fmac_f32_e32 v0, v8, v4
	ds_read_b128 v[5:8], v127 offset:2064
	s_waitcnt lgkmcnt(0)
	v_mul_f32_e32 v13, v13, v5
	v_mul_f32_e32 v14, v14, v6
	;; [unrolled: 1-line block ×4, first 2 shown]
	ds_read_b128 v[5:8], v127 offset:32
	s_clause 0x3
	buffer_load_dword v1, off, s[28:31], 0 offset:8
	buffer_load_dword v2, off, s[28:31], 0 offset:12
	;; [unrolled: 1-line block ×4, first 2 shown]
	s_waitcnt vmcnt(3) lgkmcnt(0)
	v_fmac_f32_e32 v0, v5, v1
	s_waitcnt vmcnt(2)
	v_fmac_f32_e32 v0, v6, v2
	s_waitcnt vmcnt(1)
	;; [unrolled: 2-line block ×3, first 2 shown]
	v_fmac_f32_e32 v0, v8, v4
	ds_read_b128 v[5:8], v127 offset:2080
	s_waitcnt lgkmcnt(0)
	v_mul_f32_e32 v1, v1, v5
	v_mul_f32_e32 v2, v2, v6
	;; [unrolled: 1-line block ×4, first 2 shown]
	ds_read_b128 v[5:8], v127 offset:48
	v_mov_b32_e32 v20, v4
	v_mov_b32_e32 v19, v3
	;; [unrolled: 1-line block ×4, first 2 shown]
	s_waitcnt lgkmcnt(0)
	v_fmac_f32_e32 v0, v5, v121
	v_fmac_f32_e32 v0, v6, v122
	v_fmac_f32_e32 v0, v7, v123
	v_fmac_f32_e32 v0, v8, v124
	ds_read_b128 v[5:8], v127 offset:2096
	s_waitcnt lgkmcnt(0)
	v_mul_f32_e32 v121, v121, v5
	v_mul_f32_e32 v122, v122, v6
	v_mul_f32_e32 v123, v123, v7
	v_mul_f32_e32 v124, v124, v8
	ds_read_b128 v[5:8], v127 offset:64
	s_waitcnt lgkmcnt(0)
	v_fmac_f32_e32 v0, v5, v117
	v_fmac_f32_e32 v0, v6, v118
	v_fmac_f32_e32 v0, v7, v119
	v_fmac_f32_e32 v0, v8, v120
	ds_read_b128 v[5:8], v127 offset:2112
	s_waitcnt lgkmcnt(0)
	v_mul_f32_e32 v117, v117, v5
	v_mul_f32_e32 v118, v118, v6
	v_mul_f32_e32 v119, v119, v7
	v_mul_f32_e32 v120, v120, v8
	ds_read_b128 v[5:8], v127 offset:80
	;; [unrolled: 12-line block ×11, first 2 shown]
	s_waitcnt lgkmcnt(0)
	v_fmac_f32_e32 v0, v5, v77
	v_fmac_f32_e32 v0, v6, v78
	;; [unrolled: 1-line block ×4, first 2 shown]
	ds_read_b128 v[5:8], v127 offset:2272
	s_waitcnt lgkmcnt(0)
	v_mul_f32_e32 v77, v77, v5
	v_mul_f32_e32 v78, v78, v6
	s_clause 0x1
	buffer_load_dword v5, off, s[28:31], 0
	buffer_load_dword v6, off, s[28:31], 0 offset:4
	v_mul_f32_e32 v79, v79, v7
	s_clause 0x1
	buffer_load_dword v6, off, s[28:31], 0
	buffer_load_dword v7, off, s[28:31], 0 offset:4
	v_mul_f32_e32 v80, v80, v8
	s_waitcnt vmcnt(3)
	v_add_co_u32 v5, vcc_lo, s14, v5
	s_waitcnt vmcnt(0)
	v_add_co_ci_u32_e64 v6, null, s15, v7, vcc_lo
	global_load_dword v125, v[5:6], off
	ds_read_b128 v[5:8], v127 offset:1024
	s_waitcnt vmcnt(0) lgkmcnt(0)
	v_fmac_f32_e32 v9, v125, v5
	v_fmac_f32_e32 v10, v125, v6
	;; [unrolled: 1-line block ×4, first 2 shown]
	ds_read_b128 v[5:8], v127 offset:1040
	v_mov_b32_e32 v1, v9
	v_mov_b32_e32 v2, v10
	;; [unrolled: 1-line block ×4, first 2 shown]
	s_waitcnt lgkmcnt(0)
	v_fmac_f32_e32 v13, v125, v5
	v_fmac_f32_e32 v14, v125, v6
	;; [unrolled: 1-line block ×4, first 2 shown]
	buffer_store_dword v13, off, s[28:31], 0 offset:24 ; 4-byte Folded Spill
	buffer_store_dword v14, off, s[28:31], 0 offset:28 ; 4-byte Folded Spill
	;; [unrolled: 1-line block ×4, first 2 shown]
	ds_read_b128 v[5:8], v127 offset:1056
	s_waitcnt lgkmcnt(0)
	v_fmac_f32_e32 v17, v125, v5
	v_fmac_f32_e32 v18, v125, v6
	;; [unrolled: 1-line block ×4, first 2 shown]
	buffer_store_dword v17, off, s[28:31], 0 offset:8 ; 4-byte Folded Spill
	buffer_store_dword v18, off, s[28:31], 0 offset:12 ; 4-byte Folded Spill
	;; [unrolled: 1-line block ×4, first 2 shown]
	ds_read_b128 v[5:8], v127 offset:1072
	s_waitcnt lgkmcnt(0)
	v_fmac_f32_e32 v121, v125, v5
	v_fmac_f32_e32 v122, v125, v6
	v_fmac_f32_e32 v123, v125, v7
	v_fmac_f32_e32 v124, v125, v8
	ds_read_b128 v[5:8], v127 offset:1088
	s_waitcnt lgkmcnt(0)
	v_fmac_f32_e32 v117, v125, v5
	v_fmac_f32_e32 v118, v125, v6
	v_fmac_f32_e32 v119, v125, v7
	v_fmac_f32_e32 v120, v125, v8
	;; [unrolled: 6-line block ×13, first 2 shown]
	ds_read_b128 v[5:8], v127 offset:2288
	s_waitcnt lgkmcnt(0)
	v_mul_f32_e32 v73, v73, v5
	v_mul_f32_e32 v74, v74, v6
	v_mul_f32_e32 v75, v75, v7
	v_mul_f32_e32 v76, v76, v8
	ds_read_b128 v[5:8], v127 offset:1264
	s_waitcnt lgkmcnt(0)
	v_fmac_f32_e32 v73, v125, v5
	v_fmac_f32_e32 v74, v125, v6
	v_fmac_f32_e32 v75, v125, v7
	v_fmac_f32_e32 v76, v125, v8
	ds_read_b128 v[5:8], v127 offset:256
	s_waitcnt lgkmcnt(0)
	v_fmac_f32_e32 v0, v5, v69
	v_fmac_f32_e32 v0, v6, v70
	v_fmac_f32_e32 v0, v7, v71
	v_fmac_f32_e32 v0, v8, v72
	ds_read_b128 v[5:8], v127 offset:2304
	s_waitcnt lgkmcnt(0)
	v_mul_f32_e32 v69, v69, v5
	v_mul_f32_e32 v70, v70, v6
	v_mul_f32_e32 v71, v71, v7
	v_mul_f32_e32 v72, v72, v8
	ds_read_b128 v[5:8], v127 offset:1280
	s_waitcnt lgkmcnt(0)
	v_fmac_f32_e32 v69, v125, v5
	v_fmac_f32_e32 v70, v125, v6
	v_fmac_f32_e32 v71, v125, v7
	v_fmac_f32_e32 v72, v125, v8
	ds_read_b128 v[5:8], v127 offset:272
	s_waitcnt lgkmcnt(0)
	v_fmac_f32_e32 v0, v5, v65
	v_fmac_f32_e32 v0, v6, v66
	v_fmac_f32_e32 v0, v7, v67
	v_fmac_f32_e32 v0, v8, v68
	ds_read_b128 v[5:8], v127 offset:2320
	s_waitcnt lgkmcnt(0)
	v_mul_f32_e32 v65, v65, v5
	v_mul_f32_e32 v66, v66, v6
	v_mul_f32_e32 v67, v67, v7
	v_mul_f32_e32 v68, v68, v8
	ds_read_b128 v[5:8], v127 offset:1296
	s_waitcnt lgkmcnt(0)
	v_fmac_f32_e32 v65, v125, v5
	v_fmac_f32_e32 v66, v125, v6
	v_fmac_f32_e32 v67, v125, v7
	v_fmac_f32_e32 v68, v125, v8
	ds_read_b128 v[5:8], v127 offset:288
	s_waitcnt lgkmcnt(0)
	v_fmac_f32_e32 v0, v5, v61
	v_fmac_f32_e32 v0, v6, v62
	v_fmac_f32_e32 v0, v7, v63
	v_fmac_f32_e32 v0, v8, v64
	ds_read_b128 v[5:8], v127 offset:2336
	s_waitcnt lgkmcnt(0)
	v_mul_f32_e32 v61, v61, v5
	v_mul_f32_e32 v62, v62, v6
	v_mul_f32_e32 v63, v63, v7
	v_mul_f32_e32 v64, v64, v8
	ds_read_b128 v[5:8], v127 offset:1312
	s_waitcnt lgkmcnt(0)
	v_fmac_f32_e32 v61, v125, v5
	v_fmac_f32_e32 v62, v125, v6
	v_fmac_f32_e32 v63, v125, v7
	v_fmac_f32_e32 v64, v125, v8
	ds_read_b128 v[5:8], v127 offset:304
	s_waitcnt lgkmcnt(0)
	v_fmac_f32_e32 v0, v5, v57
	v_fmac_f32_e32 v0, v6, v58
	v_fmac_f32_e32 v0, v7, v59
	v_fmac_f32_e32 v0, v8, v60
	ds_read_b128 v[5:8], v127 offset:2352
	s_waitcnt lgkmcnt(0)
	v_mul_f32_e32 v57, v57, v5
	v_mul_f32_e32 v58, v58, v6
	v_mul_f32_e32 v59, v59, v7
	v_mul_f32_e32 v60, v60, v8
	ds_read_b128 v[5:8], v127 offset:1328
	s_waitcnt lgkmcnt(0)
	v_fmac_f32_e32 v57, v125, v5
	v_fmac_f32_e32 v58, v125, v6
	v_fmac_f32_e32 v59, v125, v7
	v_fmac_f32_e32 v60, v125, v8
	ds_read_b128 v[5:8], v127 offset:320
	s_waitcnt lgkmcnt(0)
	v_fmac_f32_e32 v0, v5, v53
	v_fmac_f32_e32 v0, v6, v54
	v_fmac_f32_e32 v0, v7, v55
	v_fmac_f32_e32 v0, v8, v56
	ds_read_b128 v[5:8], v127 offset:2368
	s_waitcnt lgkmcnt(0)
	v_mul_f32_e32 v53, v53, v5
	v_mul_f32_e32 v54, v54, v6
	v_mul_f32_e32 v55, v55, v7
	v_mul_f32_e32 v56, v56, v8
	ds_read_b128 v[5:8], v127 offset:1344
	s_waitcnt lgkmcnt(0)
	v_fmac_f32_e32 v53, v125, v5
	v_fmac_f32_e32 v54, v125, v6
	v_fmac_f32_e32 v55, v125, v7
	v_fmac_f32_e32 v56, v125, v8
	ds_read_b128 v[5:8], v127 offset:336
	s_waitcnt lgkmcnt(0)
	v_fmac_f32_e32 v0, v5, v49
	v_fmac_f32_e32 v0, v6, v50
	v_fmac_f32_e32 v0, v7, v51
	v_fmac_f32_e32 v0, v8, v52
	ds_read_b128 v[5:8], v127 offset:2384
	s_waitcnt lgkmcnt(0)
	v_mul_f32_e32 v49, v49, v5
	v_mul_f32_e32 v50, v50, v6
	v_mul_f32_e32 v51, v51, v7
	v_mul_f32_e32 v52, v52, v8
	ds_read_b128 v[5:8], v127 offset:1360
	s_waitcnt lgkmcnt(0)
	v_fmac_f32_e32 v49, v125, v5
	v_fmac_f32_e32 v50, v125, v6
	v_fmac_f32_e32 v51, v125, v7
	v_fmac_f32_e32 v52, v125, v8
	ds_read_b128 v[5:8], v127 offset:352
	s_waitcnt lgkmcnt(0)
	v_fmac_f32_e32 v0, v5, v45
	v_fmac_f32_e32 v0, v6, v46
	v_fmac_f32_e32 v0, v7, v47
	v_fmac_f32_e32 v0, v8, v48
	ds_read_b128 v[5:8], v127 offset:2400
	s_waitcnt lgkmcnt(0)
	v_mul_f32_e32 v45, v45, v5
	v_mul_f32_e32 v46, v46, v6
	v_mul_f32_e32 v47, v47, v7
	v_mul_f32_e32 v48, v48, v8
	ds_read_b128 v[5:8], v127 offset:1376
	s_waitcnt lgkmcnt(0)
	v_fmac_f32_e32 v45, v125, v5
	v_fmac_f32_e32 v46, v125, v6
	v_fmac_f32_e32 v47, v125, v7
	v_fmac_f32_e32 v48, v125, v8
	ds_read_b128 v[5:8], v127 offset:368
	s_waitcnt lgkmcnt(0)
	v_fmac_f32_e32 v0, v5, v41
	v_fmac_f32_e32 v0, v6, v42
	v_fmac_f32_e32 v0, v7, v43
	v_fmac_f32_e32 v0, v8, v44
	ds_read_b128 v[5:8], v127 offset:2416
	s_waitcnt lgkmcnt(0)
	v_mul_f32_e32 v41, v41, v5
	v_mul_f32_e32 v42, v42, v6
	v_mul_f32_e32 v43, v43, v7
	v_mul_f32_e32 v44, v44, v8
	ds_read_b128 v[5:8], v127 offset:1392
	s_waitcnt lgkmcnt(0)
	v_fmac_f32_e32 v41, v125, v5
	v_fmac_f32_e32 v42, v125, v6
	v_fmac_f32_e32 v43, v125, v7
	v_fmac_f32_e32 v44, v125, v8
	ds_read_b128 v[5:8], v127 offset:384
	s_waitcnt lgkmcnt(0)
	v_fmac_f32_e32 v0, v5, v37
	v_fmac_f32_e32 v0, v6, v38
	v_fmac_f32_e32 v0, v7, v39
	v_fmac_f32_e32 v0, v8, v40
	ds_read_b128 v[5:8], v127 offset:2432
	s_waitcnt lgkmcnt(0)
	v_mul_f32_e32 v37, v37, v5
	v_mul_f32_e32 v38, v38, v6
	v_mul_f32_e32 v39, v39, v7
	v_mul_f32_e32 v40, v40, v8
	ds_read_b128 v[5:8], v127 offset:1408
	s_waitcnt lgkmcnt(0)
	v_fmac_f32_e32 v37, v125, v5
	v_fmac_f32_e32 v38, v125, v6
	v_fmac_f32_e32 v39, v125, v7
	v_fmac_f32_e32 v40, v125, v8
	ds_read_b128 v[5:8], v127 offset:400
	s_waitcnt lgkmcnt(0)
	v_fmac_f32_e32 v0, v5, v33
	v_fmac_f32_e32 v0, v6, v34
	v_fmac_f32_e32 v0, v7, v35
	v_fmac_f32_e32 v0, v8, v36
	ds_read_b128 v[5:8], v127 offset:2448
	s_waitcnt lgkmcnt(0)
	v_mul_f32_e32 v33, v33, v5
	v_mul_f32_e32 v34, v34, v6
	v_mul_f32_e32 v35, v35, v7
	v_mul_f32_e32 v36, v36, v8
	ds_read_b128 v[5:8], v127 offset:1424
	s_waitcnt lgkmcnt(0)
	v_fmac_f32_e32 v33, v125, v5
	v_fmac_f32_e32 v34, v125, v6
	v_fmac_f32_e32 v35, v125, v7
	v_fmac_f32_e32 v36, v125, v8
	ds_read_b128 v[5:8], v127 offset:416
	s_waitcnt lgkmcnt(0)
	v_fmac_f32_e32 v0, v5, v29
	v_fmac_f32_e32 v0, v6, v30
	v_fmac_f32_e32 v0, v7, v31
	v_fmac_f32_e32 v0, v8, v32
	ds_read_b128 v[5:8], v127 offset:2464
	s_waitcnt lgkmcnt(0)
	v_mul_f32_e32 v29, v29, v5
	v_mul_f32_e32 v30, v30, v6
	v_mul_f32_e32 v31, v31, v7
	v_mul_f32_e32 v32, v32, v8
	ds_read_b128 v[5:8], v127 offset:1440
	s_waitcnt lgkmcnt(0)
	v_fmac_f32_e32 v29, v125, v5
	v_fmac_f32_e32 v30, v125, v6
	v_fmac_f32_e32 v31, v125, v7
	v_fmac_f32_e32 v32, v125, v8
	ds_read_b128 v[5:8], v127 offset:432
	s_waitcnt lgkmcnt(0)
	v_fmac_f32_e32 v0, v5, v25
	v_fmac_f32_e32 v0, v6, v26
	v_fmac_f32_e32 v0, v7, v27
	v_fmac_f32_e32 v0, v8, v28
	ds_read_b128 v[5:8], v127 offset:2480
	s_waitcnt lgkmcnt(0)
	v_mul_f32_e32 v25, v25, v5
	v_mul_f32_e32 v26, v26, v6
	v_mul_f32_e32 v27, v27, v7
	v_mul_f32_e32 v28, v28, v8
	ds_read_b128 v[5:8], v127 offset:1456
	s_waitcnt lgkmcnt(0)
	v_fmac_f32_e32 v25, v125, v5
	v_fmac_f32_e32 v26, v125, v6
	v_fmac_f32_e32 v27, v125, v7
	v_fmac_f32_e32 v28, v125, v8
	ds_read_b128 v[5:8], v127 offset:448
	s_waitcnt lgkmcnt(0)
	v_fmac_f32_e32 v0, v5, v21
	v_fmac_f32_e32 v0, v6, v22
	v_fmac_f32_e32 v0, v7, v23
	v_fmac_f32_e32 v0, v8, v24
	ds_read_b128 v[5:8], v127 offset:2496
	s_waitcnt lgkmcnt(0)
	v_mul_f32_e32 v21, v21, v5
	v_mul_f32_e32 v22, v22, v6
	v_mul_f32_e32 v23, v23, v7
	v_mul_f32_e32 v24, v24, v8
	ds_read_b128 v[5:8], v127 offset:1472
	s_waitcnt lgkmcnt(0)
	v_fmac_f32_e32 v21, v125, v5
	v_fmac_f32_e32 v22, v125, v6
	v_fmac_f32_e32 v23, v125, v7
	v_fmac_f32_e32 v24, v125, v8
	ds_read_b128 v[5:8], v127 offset:464
	s_clause 0x3
	buffer_load_dword v13, off, s[28:31], 0 offset:88
	buffer_load_dword v14, off, s[28:31], 0 offset:92
	buffer_load_dword v15, off, s[28:31], 0 offset:96
	buffer_load_dword v16, off, s[28:31], 0 offset:100
	s_waitcnt vmcnt(3) lgkmcnt(0)
	v_fmac_f32_e32 v0, v5, v13
	s_waitcnt vmcnt(2)
	v_fmac_f32_e32 v0, v6, v14
	s_waitcnt vmcnt(1)
	v_fmac_f32_e32 v0, v7, v15
	s_waitcnt vmcnt(0)
	v_fmac_f32_e32 v0, v8, v16
	ds_read_b128 v[5:8], v127 offset:2512
	s_waitcnt lgkmcnt(0)
	v_mul_f32_e32 v13, v13, v5
	v_mul_f32_e32 v14, v14, v6
	v_mul_f32_e32 v15, v15, v7
	v_mul_f32_e32 v16, v16, v8
	ds_read_b128 v[5:8], v127 offset:1488
	s_waitcnt lgkmcnt(0)
	v_fmac_f32_e32 v13, v125, v5
	v_fmac_f32_e32 v14, v125, v6
	v_fmac_f32_e32 v15, v125, v7
	v_fmac_f32_e32 v16, v125, v8
	ds_read_b128 v[5:8], v127 offset:480
	s_clause 0x3
	buffer_load_dword v17, off, s[28:31], 0 offset:72
	buffer_load_dword v18, off, s[28:31], 0 offset:76
	buffer_load_dword v19, off, s[28:31], 0 offset:80
	buffer_load_dword v20, off, s[28:31], 0 offset:84
	s_waitcnt vmcnt(3) lgkmcnt(0)
	v_fmac_f32_e32 v0, v5, v17
	s_waitcnt vmcnt(2)
	v_fmac_f32_e32 v0, v6, v18
	s_waitcnt vmcnt(1)
	v_fmac_f32_e32 v0, v7, v19
	s_waitcnt vmcnt(0)
	v_fmac_f32_e32 v0, v8, v20
	;; [unrolled: 26-line block ×3, first 2 shown]
	ds_read_b128 v[5:8], v127 offset:2544
	s_waitcnt lgkmcnt(0)
	v_mul_f32_e32 v9, v9, v5
	v_mul_f32_e32 v10, v10, v6
	;; [unrolled: 1-line block ×4, first 2 shown]
	ds_read_b128 v[5:8], v127 offset:1520
	s_waitcnt lgkmcnt(0)
	v_fmac_f32_e32 v9, v125, v5
	v_fmac_f32_e32 v10, v125, v6
	;; [unrolled: 1-line block ×4, first 2 shown]
	s_clause 0x1
	buffer_load_dword v125, off, s[28:31], 0
	buffer_load_dword v126, off, s[28:31], 0 offset:4
	ds_read_b128 v[5:8], v127 offset:512
	s_waitcnt lgkmcnt(0)
	v_fmac_f32_e32 v1, v0, v5
	v_fmac_f32_e32 v2, v0, v6
	v_fmac_f32_e32 v3, v0, v7
	v_fmac_f32_e32 v4, v0, v8
	buffer_store_dword v1, off, s[28:31], 0 offset:40 ; 4-byte Folded Spill
	buffer_store_dword v2, off, s[28:31], 0 offset:44 ; 4-byte Folded Spill
	;; [unrolled: 1-line block ×4, first 2 shown]
	ds_read_b128 v[5:8], v127 offset:528
	s_clause 0x3
	buffer_load_dword v1, off, s[28:31], 0 offset:24
	buffer_load_dword v2, off, s[28:31], 0 offset:28
	;; [unrolled: 1-line block ×4, first 2 shown]
	s_waitcnt vmcnt(3) lgkmcnt(0)
	v_fmac_f32_e32 v1, v0, v5
	s_waitcnt vmcnt(2)
	v_fmac_f32_e32 v2, v0, v6
	s_waitcnt vmcnt(1)
	v_fmac_f32_e32 v3, v0, v7
	s_waitcnt vmcnt(0)
	v_fmac_f32_e32 v4, v0, v8
	buffer_store_dword v1, off, s[28:31], 0 offset:24 ; 4-byte Folded Spill
	buffer_store_dword v2, off, s[28:31], 0 offset:28 ; 4-byte Folded Spill
	;; [unrolled: 1-line block ×4, first 2 shown]
	ds_read_b128 v[5:8], v127 offset:544
	s_clause 0x3
	buffer_load_dword v1, off, s[28:31], 0 offset:8
	buffer_load_dword v2, off, s[28:31], 0 offset:12
	;; [unrolled: 1-line block ×4, first 2 shown]
	s_waitcnt vmcnt(3) lgkmcnt(0)
	v_fmac_f32_e32 v1, v0, v5
	s_waitcnt vmcnt(2)
	v_fmac_f32_e32 v2, v0, v6
	s_waitcnt vmcnt(1)
	;; [unrolled: 2-line block ×3, first 2 shown]
	v_fmac_f32_e32 v4, v0, v8
	buffer_store_dword v1, off, s[28:31], 0 offset:8 ; 4-byte Folded Spill
	buffer_store_dword v2, off, s[28:31], 0 offset:12 ; 4-byte Folded Spill
	buffer_store_dword v3, off, s[28:31], 0 offset:16 ; 4-byte Folded Spill
	buffer_store_dword v4, off, s[28:31], 0 offset:20 ; 4-byte Folded Spill
	ds_read_b128 v[5:8], v127 offset:560
	s_waitcnt lgkmcnt(0)
	v_fmac_f32_e32 v121, v0, v5
	v_fmac_f32_e32 v122, v0, v6
	v_fmac_f32_e32 v123, v0, v7
	v_fmac_f32_e32 v124, v0, v8
	ds_read_b128 v[5:8], v127 offset:576
	s_waitcnt lgkmcnt(0)
	v_fmac_f32_e32 v117, v0, v5
	v_fmac_f32_e32 v118, v0, v6
	v_fmac_f32_e32 v119, v0, v7
	v_fmac_f32_e32 v120, v0, v8
	;; [unrolled: 6-line block ×29, first 2 shown]
	ds_read_b128 v[5:8], v127 offset:1536
	s_clause 0x3
	buffer_load_dword v0, off, s[28:31], 0 offset:40
	buffer_load_dword v1, off, s[28:31], 0 offset:44
	;; [unrolled: 1-line block ×4, first 2 shown]
	s_waitcnt vmcnt(3) lgkmcnt(0)
	v_fma_f32 v0, v0, v5, 0
	s_waitcnt vmcnt(2)
	v_fmac_f32_e32 v0, v1, v6
	s_waitcnt vmcnt(1)
	v_fmac_f32_e32 v0, v2, v7
	;; [unrolled: 2-line block ×3, first 2 shown]
	ds_read_b128 v[5:8], v127 offset:1552
	s_clause 0x3
	buffer_load_dword v1, off, s[28:31], 0 offset:24
	buffer_load_dword v2, off, s[28:31], 0 offset:28
	;; [unrolled: 1-line block ×4, first 2 shown]
	s_waitcnt vmcnt(3) lgkmcnt(0)
	v_fmac_f32_e32 v0, v1, v5
	s_waitcnt vmcnt(2)
	v_fmac_f32_e32 v0, v2, v6
	s_waitcnt vmcnt(1)
	;; [unrolled: 2-line block ×3, first 2 shown]
	v_fmac_f32_e32 v0, v4, v8
	ds_read_b128 v[5:8], v127 offset:1568
	s_clause 0x3
	buffer_load_dword v1, off, s[28:31], 0 offset:8
	buffer_load_dword v2, off, s[28:31], 0 offset:12
	;; [unrolled: 1-line block ×4, first 2 shown]
	s_waitcnt vmcnt(3) lgkmcnt(0)
	v_fmac_f32_e32 v0, v1, v5
	s_waitcnt vmcnt(2)
	v_fmac_f32_e32 v0, v2, v6
	s_waitcnt vmcnt(1)
	;; [unrolled: 2-line block ×3, first 2 shown]
	v_fmac_f32_e32 v0, v4, v8
	ds_read_b128 v[5:8], v127 offset:1584
	s_waitcnt lgkmcnt(0)
	v_fmac_f32_e32 v0, v121, v5
	v_fmac_f32_e32 v0, v122, v6
	v_fmac_f32_e32 v0, v123, v7
	v_fmac_f32_e32 v0, v124, v8
	ds_read_b128 v[5:8], v127 offset:1600
	s_waitcnt lgkmcnt(0)
	v_fmac_f32_e32 v0, v117, v5
	v_fmac_f32_e32 v0, v118, v6
	v_fmac_f32_e32 v0, v119, v7
	;; [unrolled: 6-line block ×27, first 2 shown]
	buffer_store_dword v13, off, s[28:31], 0 offset:88 ; 4-byte Folded Spill
	buffer_store_dword v14, off, s[28:31], 0 offset:92 ; 4-byte Folded Spill
	;; [unrolled: 1-line block ×4, first 2 shown]
	v_fmac_f32_e32 v0, v16, v8
	ds_read_b128 v[5:8], v127 offset:2016
	s_waitcnt lgkmcnt(0)
	v_fmac_f32_e32 v0, v17, v5
	v_fmac_f32_e32 v0, v18, v6
	;; [unrolled: 1-line block ×3, first 2 shown]
	buffer_store_dword v17, off, s[28:31], 0 offset:72 ; 4-byte Folded Spill
	buffer_store_dword v18, off, s[28:31], 0 offset:76 ; 4-byte Folded Spill
	;; [unrolled: 1-line block ×4, first 2 shown]
	v_fmac_f32_e32 v0, v20, v8
	ds_read_b128 v[5:8], v127 offset:2032
	s_waitcnt lgkmcnt(0)
	v_fmac_f32_e32 v0, v9, v5
	v_add_co_u32 v5, vcc_lo, s22, v125
	v_add_co_u32 v125, s0, v125, s4
	v_fmac_f32_e32 v0, v10, v6
	v_add_co_ci_u32_e64 v6, null, s23, v126, vcc_lo
	v_add_co_ci_u32_e64 v126, null, s5, v126, s0
	v_fmac_f32_e32 v0, v11, v7
	buffer_store_dword v9, off, s[28:31], 0 offset:56 ; 4-byte Folded Spill
	buffer_store_dword v10, off, s[28:31], 0 offset:60 ; 4-byte Folded Spill
	;; [unrolled: 1-line block ×4, first 2 shown]
	v_fmac_f32_e32 v0, v12, v8
	s_clause 0x1
	buffer_load_dword v7, off, s[28:31], 0 offset:104
	buffer_load_dword v8, off, s[28:31], 0 offset:108
	global_store_dword v[5:6], v0, off
	s_clause 0x1
	buffer_load_dword v5, off, s[28:31], 0 offset:112
	buffer_load_dword v6, off, s[28:31], 0 offset:116
	s_waitcnt vmcnt(3)
	v_add_nc_u32_e32 v7, s2, v7
	s_waitcnt vmcnt(1)
	v_cmp_ge_i32_e32 vcc_lo, v7, v5
	s_or_b32 s7, vcc_lo, s7
	s_andn2_b32 exec_lo, exec_lo, s7
	s_cbranch_execnz .LBB3_2
; %bb.3:
	s_or_b32 exec_lo, exec_lo, s7
	s_clause 0xf
	buffer_load_dword v13, off, s[28:31], 0 offset:40
	buffer_load_dword v14, off, s[28:31], 0 offset:44
	;; [unrolled: 1-line block ×16, first 2 shown]
.LBB3_4:
	s_or_b32 exec_lo, exec_lo, s6
	s_clause 0x1
	buffer_load_dword v5, off, s[28:31], 0 offset:124
	buffer_load_dword v6, off, s[28:31], 0 offset:128
	s_waitcnt vmcnt(0)
	v_mad_u64_u32 v[5:6], null, s2, s1, v[5:6]
	v_ashrrev_i32_e32 v6, 31, v5
	v_lshlrev_b64 v[5:6], 2, v[5:6]
	v_add_co_u32 v5, vcc_lo, s22, v5
	v_add_co_ci_u32_e64 v6, null, s23, v6, vcc_lo
	global_store_dwordx4 v[5:6], v[13:16], off
	global_store_dwordx4 v[5:6], v[9:12], off offset:16
	global_store_dwordx4 v[5:6], v[1:4], off offset:32
	;; [unrolled: 1-line block ×29, first 2 shown]
	s_clause 0x3
	buffer_load_dword v0, off, s[28:31], 0 offset:72
	buffer_load_dword v1, off, s[28:31], 0 offset:76
	;; [unrolled: 1-line block ×4, first 2 shown]
	s_waitcnt vmcnt(0)
	global_store_dwordx4 v[5:6], v[0:3], off offset:480
	s_clause 0x3
	buffer_load_dword v0, off, s[28:31], 0 offset:56
	buffer_load_dword v1, off, s[28:31], 0 offset:60
	;; [unrolled: 1-line block ×4, first 2 shown]
	s_waitcnt vmcnt(0)
	global_store_dwordx4 v[5:6], v[0:3], off offset:496
	s_endpgm
	.section	.rodata,"a",@progbits
	.p2align	6, 0x0
	.amdhsa_kernel _ZL13rwkv_wkv7_f32ILi128EEviiiiPKfS1_S1_S1_S1_S1_S1_Pf
		.amdhsa_group_segment_fixed_size 2560
		.amdhsa_private_segment_fixed_size 136
		.amdhsa_kernarg_size 80
		.amdhsa_user_sgpr_count 6
		.amdhsa_user_sgpr_private_segment_buffer 1
		.amdhsa_user_sgpr_dispatch_ptr 0
		.amdhsa_user_sgpr_queue_ptr 0
		.amdhsa_user_sgpr_kernarg_segment_ptr 1
		.amdhsa_user_sgpr_dispatch_id 0
		.amdhsa_user_sgpr_flat_scratch_init 0
		.amdhsa_user_sgpr_private_segment_size 0
		.amdhsa_wavefront_size32 1
		.amdhsa_uses_dynamic_stack 0
		.amdhsa_system_sgpr_private_segment_wavefront_offset 1
		.amdhsa_system_sgpr_workgroup_id_x 1
		.amdhsa_system_sgpr_workgroup_id_y 0
		.amdhsa_system_sgpr_workgroup_id_z 0
		.amdhsa_system_sgpr_workgroup_info 0
		.amdhsa_system_vgpr_workitem_id 0
		.amdhsa_next_free_vgpr 128
		.amdhsa_next_free_sgpr 32
		.amdhsa_reserve_vcc 1
		.amdhsa_reserve_flat_scratch 0
		.amdhsa_float_round_mode_32 0
		.amdhsa_float_round_mode_16_64 0
		.amdhsa_float_denorm_mode_32 3
		.amdhsa_float_denorm_mode_16_64 3
		.amdhsa_dx10_clamp 1
		.amdhsa_ieee_mode 1
		.amdhsa_fp16_overflow 0
		.amdhsa_workgroup_processor_mode 1
		.amdhsa_memory_ordered 1
		.amdhsa_forward_progress 1
		.amdhsa_shared_vgpr_count 0
		.amdhsa_exception_fp_ieee_invalid_op 0
		.amdhsa_exception_fp_denorm_src 0
		.amdhsa_exception_fp_ieee_div_zero 0
		.amdhsa_exception_fp_ieee_overflow 0
		.amdhsa_exception_fp_ieee_underflow 0
		.amdhsa_exception_fp_ieee_inexact 0
		.amdhsa_exception_int_div_zero 0
	.end_amdhsa_kernel
	.section	.text._ZL13rwkv_wkv7_f32ILi128EEviiiiPKfS1_S1_S1_S1_S1_S1_Pf,"axG",@progbits,_ZL13rwkv_wkv7_f32ILi128EEviiiiPKfS1_S1_S1_S1_S1_S1_Pf,comdat
.Lfunc_end3:
	.size	_ZL13rwkv_wkv7_f32ILi128EEviiiiPKfS1_S1_S1_S1_S1_S1_Pf, .Lfunc_end3-_ZL13rwkv_wkv7_f32ILi128EEviiiiPKfS1_S1_S1_S1_S1_S1_Pf
                                        ; -- End function
	.set _ZL13rwkv_wkv7_f32ILi128EEviiiiPKfS1_S1_S1_S1_S1_S1_Pf.num_vgpr, 128
	.set _ZL13rwkv_wkv7_f32ILi128EEviiiiPKfS1_S1_S1_S1_S1_S1_Pf.num_agpr, 0
	.set _ZL13rwkv_wkv7_f32ILi128EEviiiiPKfS1_S1_S1_S1_S1_S1_Pf.numbered_sgpr, 32
	.set _ZL13rwkv_wkv7_f32ILi128EEviiiiPKfS1_S1_S1_S1_S1_S1_Pf.num_named_barrier, 0
	.set _ZL13rwkv_wkv7_f32ILi128EEviiiiPKfS1_S1_S1_S1_S1_S1_Pf.private_seg_size, 136
	.set _ZL13rwkv_wkv7_f32ILi128EEviiiiPKfS1_S1_S1_S1_S1_S1_Pf.uses_vcc, 1
	.set _ZL13rwkv_wkv7_f32ILi128EEviiiiPKfS1_S1_S1_S1_S1_S1_Pf.uses_flat_scratch, 0
	.set _ZL13rwkv_wkv7_f32ILi128EEviiiiPKfS1_S1_S1_S1_S1_S1_Pf.has_dyn_sized_stack, 0
	.set _ZL13rwkv_wkv7_f32ILi128EEviiiiPKfS1_S1_S1_S1_S1_S1_Pf.has_recursion, 0
	.set _ZL13rwkv_wkv7_f32ILi128EEviiiiPKfS1_S1_S1_S1_S1_S1_Pf.has_indirect_call, 0
	.section	.AMDGPU.csdata,"",@progbits
; Kernel info:
; codeLenInByte = 7288
; TotalNumSgprs: 34
; NumVgprs: 128
; ScratchSize: 136
; MemoryBound: 0
; FloatMode: 240
; IeeeMode: 1
; LDSByteSize: 2560 bytes/workgroup (compile time only)
; SGPRBlocks: 0
; VGPRBlocks: 15
; NumSGPRsForWavesPerEU: 34
; NumVGPRsForWavesPerEU: 128
; Occupancy: 8
; WaveLimiterHint : 0
; COMPUTE_PGM_RSRC2:SCRATCH_EN: 1
; COMPUTE_PGM_RSRC2:USER_SGPR: 6
; COMPUTE_PGM_RSRC2:TRAP_HANDLER: 0
; COMPUTE_PGM_RSRC2:TGID_X_EN: 1
; COMPUTE_PGM_RSRC2:TGID_Y_EN: 0
; COMPUTE_PGM_RSRC2:TGID_Z_EN: 0
; COMPUTE_PGM_RSRC2:TIDIG_COMP_CNT: 0
	.section	.AMDGPU.gpr_maximums,"",@progbits
	.set amdgpu.max_num_vgpr, 0
	.set amdgpu.max_num_agpr, 0
	.set amdgpu.max_num_sgpr, 0
	.section	.AMDGPU.csdata,"",@progbits
	.type	__hip_cuid_aea5fd8843521db,@object ; @__hip_cuid_aea5fd8843521db
	.section	.bss,"aw",@nobits
	.globl	__hip_cuid_aea5fd8843521db
__hip_cuid_aea5fd8843521db:
	.byte	0                               ; 0x0
	.size	__hip_cuid_aea5fd8843521db, 1

	.ident	"AMD clang version 22.0.0git (https://github.com/RadeonOpenCompute/llvm-project roc-7.2.4 26084 f58b06dce1f9c15707c5f808fd002e18c2accf7e)"
	.section	".note.GNU-stack","",@progbits
	.addrsig
	.addrsig_sym __hip_cuid_aea5fd8843521db
	.amdgpu_metadata
---
amdhsa.kernels:
  - .args:
      - .offset:         0
        .size:           4
        .value_kind:     by_value
      - .offset:         4
        .size:           4
        .value_kind:     by_value
      - .offset:         8
        .size:           4
        .value_kind:     by_value
      - .offset:         12
        .size:           4
        .value_kind:     by_value
      - .address_space:  global
        .offset:         16
        .size:           8
        .value_kind:     global_buffer
      - .address_space:  global
        .offset:         24
        .size:           8
        .value_kind:     global_buffer
      - .address_space:  global
        .offset:         32
        .size:           8
        .value_kind:     global_buffer
      - .address_space:  global
        .offset:         40
        .size:           8
        .value_kind:     global_buffer
      - .address_space:  global
        .offset:         48
        .size:           8
        .value_kind:     global_buffer
      - .address_space:  global
        .offset:         56
        .size:           8
        .value_kind:     global_buffer
      - .address_space:  global
        .offset:         64
        .size:           8
        .value_kind:     global_buffer
    .group_segment_fixed_size: 1024
    .kernarg_segment_align: 8
    .kernarg_segment_size: 72
    .language:       OpenCL C
    .language_version:
      - 2
      - 0
    .max_flat_workgroup_size: 1024
    .name:           _ZL12rwkv_wkv_f32ILi64EEviiiiPKfS1_S1_S1_S1_S1_Pf
    .private_segment_fixed_size: 76
    .sgpr_count:     30
    .sgpr_spill_count: 0
    .symbol:         _ZL12rwkv_wkv_f32ILi64EEviiiiPKfS1_S1_S1_S1_S1_Pf.kd
    .uniform_work_group_size: 1
    .uses_dynamic_stack: false
    .vgpr_count:     128
    .vgpr_spill_count: 24
    .wavefront_size: 32
    .workgroup_processor_mode: 1
  - .args:
      - .offset:         0
        .size:           4
        .value_kind:     by_value
      - .offset:         4
        .size:           4
        .value_kind:     by_value
      - .offset:         8
        .size:           4
        .value_kind:     by_value
      - .offset:         12
        .size:           4
        .value_kind:     by_value
      - .address_space:  global
        .offset:         16
        .size:           8
        .value_kind:     global_buffer
      - .address_space:  global
        .offset:         24
        .size:           8
        .value_kind:     global_buffer
      - .address_space:  global
        .offset:         32
        .size:           8
        .value_kind:     global_buffer
      - .address_space:  global
        .offset:         40
        .size:           8
        .value_kind:     global_buffer
      - .address_space:  global
        .offset:         48
        .size:           8
        .value_kind:     global_buffer
      - .address_space:  global
        .offset:         56
        .size:           8
        .value_kind:     global_buffer
      - .address_space:  global
        .offset:         64
        .size:           8
        .value_kind:     global_buffer
    .group_segment_fixed_size: 2048
    .kernarg_segment_align: 8
    .kernarg_segment_size: 72
    .language:       OpenCL C
    .language_version:
      - 2
      - 0
    .max_flat_workgroup_size: 1024
    .name:           _ZL12rwkv_wkv_f32ILi128EEviiiiPKfS1_S1_S1_S1_S1_Pf
    .private_segment_fixed_size: 452
    .sgpr_count:     34
    .sgpr_spill_count: 0
    .symbol:         _ZL12rwkv_wkv_f32ILi128EEviiiiPKfS1_S1_S1_S1_S1_Pf.kd
    .uniform_work_group_size: 1
    .uses_dynamic_stack: false
    .vgpr_count:     128
    .vgpr_spill_count: 125
    .wavefront_size: 32
    .workgroup_processor_mode: 1
  - .args:
      - .offset:         0
        .size:           4
        .value_kind:     by_value
      - .offset:         4
        .size:           4
        .value_kind:     by_value
      - .offset:         8
        .size:           4
        .value_kind:     by_value
      - .offset:         12
        .size:           4
        .value_kind:     by_value
      - .address_space:  global
        .offset:         16
        .size:           8
        .value_kind:     global_buffer
      - .address_space:  global
        .offset:         24
        .size:           8
        .value_kind:     global_buffer
      - .address_space:  global
        .offset:         32
        .size:           8
        .value_kind:     global_buffer
      - .address_space:  global
        .offset:         40
        .size:           8
        .value_kind:     global_buffer
      - .address_space:  global
        .offset:         48
        .size:           8
        .value_kind:     global_buffer
      - .address_space:  global
        .offset:         56
        .size:           8
        .value_kind:     global_buffer
      - .address_space:  global
        .offset:         64
        .size:           8
        .value_kind:     global_buffer
      - .address_space:  global
        .offset:         72
        .size:           8
        .value_kind:     global_buffer
    .group_segment_fixed_size: 1280
    .kernarg_segment_align: 8
    .kernarg_segment_size: 80
    .language:       OpenCL C
    .language_version:
      - 2
      - 0
    .max_flat_workgroup_size: 1024
    .name:           _ZL13rwkv_wkv7_f32ILi64EEviiiiPKfS1_S1_S1_S1_S1_S1_Pf
    .private_segment_fixed_size: 0
    .sgpr_count:     27
    .sgpr_spill_count: 0
    .symbol:         _ZL13rwkv_wkv7_f32ILi64EEviiiiPKfS1_S1_S1_S1_S1_S1_Pf.kd
    .uniform_work_group_size: 1
    .uses_dynamic_stack: false
    .vgpr_count:     94
    .vgpr_spill_count: 0
    .wavefront_size: 32
    .workgroup_processor_mode: 1
  - .args:
      - .offset:         0
        .size:           4
        .value_kind:     by_value
      - .offset:         4
        .size:           4
        .value_kind:     by_value
      - .offset:         8
        .size:           4
        .value_kind:     by_value
      - .offset:         12
        .size:           4
        .value_kind:     by_value
      - .address_space:  global
        .offset:         16
        .size:           8
        .value_kind:     global_buffer
      - .address_space:  global
        .offset:         24
        .size:           8
        .value_kind:     global_buffer
      - .address_space:  global
        .offset:         32
        .size:           8
        .value_kind:     global_buffer
      - .address_space:  global
        .offset:         40
        .size:           8
        .value_kind:     global_buffer
      - .address_space:  global
        .offset:         48
        .size:           8
        .value_kind:     global_buffer
      - .address_space:  global
        .offset:         56
        .size:           8
        .value_kind:     global_buffer
      - .address_space:  global
        .offset:         64
        .size:           8
        .value_kind:     global_buffer
      - .address_space:  global
        .offset:         72
        .size:           8
        .value_kind:     global_buffer
    .group_segment_fixed_size: 2560
    .kernarg_segment_align: 8
    .kernarg_segment_size: 80
    .language:       OpenCL C
    .language_version:
      - 2
      - 0
    .max_flat_workgroup_size: 1024
    .name:           _ZL13rwkv_wkv7_f32ILi128EEviiiiPKfS1_S1_S1_S1_S1_S1_Pf
    .private_segment_fixed_size: 136
    .sgpr_count:     34
    .sgpr_spill_count: 0
    .symbol:         _ZL13rwkv_wkv7_f32ILi128EEviiiiPKfS1_S1_S1_S1_S1_S1_Pf.kd
    .uniform_work_group_size: 1
    .uses_dynamic_stack: false
    .vgpr_count:     128
    .vgpr_spill_count: 65
    .wavefront_size: 32
    .workgroup_processor_mode: 1
amdhsa.target:   amdgcn-amd-amdhsa--gfx1030
amdhsa.version:
  - 1
  - 2
...

	.end_amdgpu_metadata
